;; amdgpu-corpus repo=ROCm/rocFFT kind=compiled arch=gfx906 opt=O3
	.text
	.amdgcn_target "amdgcn-amd-amdhsa--gfx906"
	.amdhsa_code_object_version 6
	.protected	fft_rtc_fwd_len405_factors_5_3_3_3_3_wgs_108_tpt_27_halfLds_dp_ip_CI_sbrr_dirReg ; -- Begin function fft_rtc_fwd_len405_factors_5_3_3_3_3_wgs_108_tpt_27_halfLds_dp_ip_CI_sbrr_dirReg
	.globl	fft_rtc_fwd_len405_factors_5_3_3_3_3_wgs_108_tpt_27_halfLds_dp_ip_CI_sbrr_dirReg
	.p2align	8
	.type	fft_rtc_fwd_len405_factors_5_3_3_3_3_wgs_108_tpt_27_halfLds_dp_ip_CI_sbrr_dirReg,@function
fft_rtc_fwd_len405_factors_5_3_3_3_3_wgs_108_tpt_27_halfLds_dp_ip_CI_sbrr_dirReg: ; @fft_rtc_fwd_len405_factors_5_3_3_3_3_wgs_108_tpt_27_halfLds_dp_ip_CI_sbrr_dirReg
; %bb.0:
	s_load_dwordx2 s[14:15], s[4:5], 0x18
	s_load_dwordx4 s[8:11], s[4:5], 0x0
	s_load_dwordx2 s[12:13], s[4:5], 0x50
	v_mul_u32_u24_e32 v1, 0x97c, v0
	v_lshrrev_b32_e32 v69, 16, v1
	s_waitcnt lgkmcnt(0)
	s_load_dwordx2 s[2:3], s[14:15], 0x0
	v_cmp_lt_u64_e64 s[0:1], s[10:11], 2
	v_mov_b32_e32 v3, 0
	v_mov_b32_e32 v1, 0
	v_lshl_add_u32 v5, s6, 2, v69
	v_mov_b32_e32 v6, v3
	s_and_b64 vcc, exec, s[0:1]
	v_mov_b32_e32 v2, 0
	s_cbranch_vccnz .LBB0_8
; %bb.1:
	s_load_dwordx2 s[0:1], s[4:5], 0x10
	s_add_u32 s6, s14, 8
	s_addc_u32 s7, s15, 0
	v_mov_b32_e32 v1, 0
	v_mov_b32_e32 v2, 0
	s_waitcnt lgkmcnt(0)
	s_add_u32 s16, s0, 8
	s_addc_u32 s17, s1, 0
	s_mov_b64 s[18:19], 1
.LBB0_2:                                ; =>This Inner Loop Header: Depth=1
	s_load_dwordx2 s[20:21], s[16:17], 0x0
                                        ; implicit-def: $vgpr7_vgpr8
	s_waitcnt lgkmcnt(0)
	v_or_b32_e32 v4, s21, v6
	v_cmp_ne_u64_e32 vcc, 0, v[3:4]
	s_and_saveexec_b64 s[0:1], vcc
	s_xor_b64 s[22:23], exec, s[0:1]
	s_cbranch_execz .LBB0_4
; %bb.3:                                ;   in Loop: Header=BB0_2 Depth=1
	v_cvt_f32_u32_e32 v4, s20
	v_cvt_f32_u32_e32 v7, s21
	s_sub_u32 s0, 0, s20
	s_subb_u32 s1, 0, s21
	v_mac_f32_e32 v4, 0x4f800000, v7
	v_rcp_f32_e32 v4, v4
	v_mul_f32_e32 v4, 0x5f7ffffc, v4
	v_mul_f32_e32 v7, 0x2f800000, v4
	v_trunc_f32_e32 v7, v7
	v_mac_f32_e32 v4, 0xcf800000, v7
	v_cvt_u32_f32_e32 v7, v7
	v_cvt_u32_f32_e32 v4, v4
	v_mul_lo_u32 v8, s0, v7
	v_mul_hi_u32 v9, s0, v4
	v_mul_lo_u32 v11, s1, v4
	v_mul_lo_u32 v10, s0, v4
	v_add_u32_e32 v8, v9, v8
	v_add_u32_e32 v8, v8, v11
	v_mul_hi_u32 v9, v4, v10
	v_mul_lo_u32 v11, v4, v8
	v_mul_hi_u32 v13, v4, v8
	v_mul_hi_u32 v12, v7, v10
	v_mul_lo_u32 v10, v7, v10
	v_mul_hi_u32 v14, v7, v8
	v_add_co_u32_e32 v9, vcc, v9, v11
	v_addc_co_u32_e32 v11, vcc, 0, v13, vcc
	v_mul_lo_u32 v8, v7, v8
	v_add_co_u32_e32 v9, vcc, v9, v10
	v_addc_co_u32_e32 v9, vcc, v11, v12, vcc
	v_addc_co_u32_e32 v10, vcc, 0, v14, vcc
	v_add_co_u32_e32 v8, vcc, v9, v8
	v_addc_co_u32_e32 v9, vcc, 0, v10, vcc
	v_add_co_u32_e32 v4, vcc, v4, v8
	v_addc_co_u32_e32 v7, vcc, v7, v9, vcc
	v_mul_lo_u32 v8, s0, v7
	v_mul_hi_u32 v9, s0, v4
	v_mul_lo_u32 v10, s1, v4
	v_mul_lo_u32 v11, s0, v4
	v_add_u32_e32 v8, v9, v8
	v_add_u32_e32 v8, v8, v10
	v_mul_lo_u32 v12, v4, v8
	v_mul_hi_u32 v13, v4, v11
	v_mul_hi_u32 v14, v4, v8
	v_mul_hi_u32 v10, v7, v11
	v_mul_lo_u32 v11, v7, v11
	v_mul_hi_u32 v9, v7, v8
	v_add_co_u32_e32 v12, vcc, v13, v12
	v_addc_co_u32_e32 v13, vcc, 0, v14, vcc
	v_mul_lo_u32 v8, v7, v8
	v_add_co_u32_e32 v11, vcc, v12, v11
	v_addc_co_u32_e32 v10, vcc, v13, v10, vcc
	v_addc_co_u32_e32 v9, vcc, 0, v9, vcc
	v_add_co_u32_e32 v8, vcc, v10, v8
	v_addc_co_u32_e32 v9, vcc, 0, v9, vcc
	v_add_co_u32_e32 v4, vcc, v4, v8
	v_addc_co_u32_e32 v9, vcc, v7, v9, vcc
	v_mad_u64_u32 v[7:8], s[0:1], v5, v9, 0
	v_mul_hi_u32 v10, v5, v4
	v_add_co_u32_e32 v11, vcc, v10, v7
	v_addc_co_u32_e32 v12, vcc, 0, v8, vcc
	v_mad_u64_u32 v[7:8], s[0:1], v6, v4, 0
	v_mad_u64_u32 v[9:10], s[0:1], v6, v9, 0
	v_add_co_u32_e32 v4, vcc, v11, v7
	v_addc_co_u32_e32 v4, vcc, v12, v8, vcc
	v_addc_co_u32_e32 v7, vcc, 0, v10, vcc
	v_add_co_u32_e32 v4, vcc, v4, v9
	v_addc_co_u32_e32 v9, vcc, 0, v7, vcc
	v_mul_lo_u32 v10, s21, v4
	v_mul_lo_u32 v11, s20, v9
	v_mad_u64_u32 v[7:8], s[0:1], s20, v4, 0
	v_add3_u32 v8, v8, v11, v10
	v_sub_u32_e32 v10, v6, v8
	v_mov_b32_e32 v11, s21
	v_sub_co_u32_e32 v7, vcc, v5, v7
	v_subb_co_u32_e64 v10, s[0:1], v10, v11, vcc
	v_subrev_co_u32_e64 v11, s[0:1], s20, v7
	v_subbrev_co_u32_e64 v10, s[0:1], 0, v10, s[0:1]
	v_cmp_le_u32_e64 s[0:1], s21, v10
	v_cndmask_b32_e64 v12, 0, -1, s[0:1]
	v_cmp_le_u32_e64 s[0:1], s20, v11
	v_cndmask_b32_e64 v11, 0, -1, s[0:1]
	v_cmp_eq_u32_e64 s[0:1], s21, v10
	v_cndmask_b32_e64 v10, v12, v11, s[0:1]
	v_add_co_u32_e64 v11, s[0:1], 2, v4
	v_addc_co_u32_e64 v12, s[0:1], 0, v9, s[0:1]
	v_add_co_u32_e64 v13, s[0:1], 1, v4
	v_addc_co_u32_e64 v14, s[0:1], 0, v9, s[0:1]
	v_subb_co_u32_e32 v8, vcc, v6, v8, vcc
	v_cmp_ne_u32_e64 s[0:1], 0, v10
	v_cmp_le_u32_e32 vcc, s21, v8
	v_cndmask_b32_e64 v10, v14, v12, s[0:1]
	v_cndmask_b32_e64 v12, 0, -1, vcc
	v_cmp_le_u32_e32 vcc, s20, v7
	v_cndmask_b32_e64 v7, 0, -1, vcc
	v_cmp_eq_u32_e32 vcc, s21, v8
	v_cndmask_b32_e32 v7, v12, v7, vcc
	v_cmp_ne_u32_e32 vcc, 0, v7
	v_cndmask_b32_e64 v7, v13, v11, s[0:1]
	v_cndmask_b32_e32 v8, v9, v10, vcc
	v_cndmask_b32_e32 v7, v4, v7, vcc
.LBB0_4:                                ;   in Loop: Header=BB0_2 Depth=1
	s_andn2_saveexec_b64 s[0:1], s[22:23]
	s_cbranch_execz .LBB0_6
; %bb.5:                                ;   in Loop: Header=BB0_2 Depth=1
	v_cvt_f32_u32_e32 v4, s20
	s_sub_i32 s22, 0, s20
	v_rcp_iflag_f32_e32 v4, v4
	v_mul_f32_e32 v4, 0x4f7ffffe, v4
	v_cvt_u32_f32_e32 v4, v4
	v_mul_lo_u32 v7, s22, v4
	v_mul_hi_u32 v7, v4, v7
	v_add_u32_e32 v4, v4, v7
	v_mul_hi_u32 v4, v5, v4
	v_mul_lo_u32 v7, v4, s20
	v_add_u32_e32 v8, 1, v4
	v_sub_u32_e32 v7, v5, v7
	v_subrev_u32_e32 v9, s20, v7
	v_cmp_le_u32_e32 vcc, s20, v7
	v_cndmask_b32_e32 v7, v7, v9, vcc
	v_cndmask_b32_e32 v4, v4, v8, vcc
	v_add_u32_e32 v8, 1, v4
	v_cmp_le_u32_e32 vcc, s20, v7
	v_cndmask_b32_e32 v7, v4, v8, vcc
	v_mov_b32_e32 v8, v3
.LBB0_6:                                ;   in Loop: Header=BB0_2 Depth=1
	s_or_b64 exec, exec, s[0:1]
	v_mul_lo_u32 v4, v8, s20
	v_mul_lo_u32 v11, v7, s21
	v_mad_u64_u32 v[9:10], s[0:1], v7, s20, 0
	s_load_dwordx2 s[0:1], s[6:7], 0x0
	s_add_u32 s18, s18, 1
	v_add3_u32 v4, v10, v11, v4
	v_sub_co_u32_e32 v5, vcc, v5, v9
	v_subb_co_u32_e32 v4, vcc, v6, v4, vcc
	s_waitcnt lgkmcnt(0)
	v_mul_lo_u32 v4, s0, v4
	v_mul_lo_u32 v6, s1, v5
	v_mad_u64_u32 v[1:2], s[0:1], s0, v5, v[1:2]
	s_addc_u32 s19, s19, 0
	s_add_u32 s6, s6, 8
	v_add3_u32 v2, v6, v2, v4
	v_mov_b32_e32 v4, s10
	v_mov_b32_e32 v5, s11
	s_addc_u32 s7, s7, 0
	v_cmp_ge_u64_e32 vcc, s[18:19], v[4:5]
	s_add_u32 s16, s16, 8
	s_addc_u32 s17, s17, 0
	s_cbranch_vccnz .LBB0_9
; %bb.7:                                ;   in Loop: Header=BB0_2 Depth=1
	v_mov_b32_e32 v5, v7
	v_mov_b32_e32 v6, v8
	s_branch .LBB0_2
.LBB0_8:
	v_mov_b32_e32 v8, v6
	v_mov_b32_e32 v7, v5
.LBB0_9:
	s_lshl_b64 s[0:1], s[10:11], 3
	s_add_u32 s0, s14, s0
	s_addc_u32 s1, s15, s1
	s_load_dwordx2 s[6:7], s[0:1], 0x0
	s_load_dwordx2 s[10:11], s[4:5], 0x20
                                        ; implicit-def: $vgpr66
                                        ; implicit-def: $vgpr68
                                        ; implicit-def: $vgpr65
                                        ; implicit-def: $vgpr67
	s_waitcnt lgkmcnt(0)
	v_mad_u64_u32 v[1:2], s[0:1], s6, v7, v[1:2]
	s_mov_b32 s0, 0x97b425f
	v_mul_lo_u32 v3, s6, v8
	v_mul_lo_u32 v4, s7, v7
	v_mul_hi_u32 v5, v0, s0
	v_cmp_gt_u64_e32 vcc, s[10:11], v[7:8]
	v_cmp_le_u64_e64 s[0:1], s[10:11], v[7:8]
	v_add3_u32 v2, v4, v2, v3
	v_mul_u32_u24_e32 v3, 27, v5
	v_sub_u32_e32 v62, v0, v3
	v_add_u32_e32 v64, 27, v62
	v_add_u32_e32 v63, 54, v62
	s_and_saveexec_b64 s[4:5], s[0:1]
	s_xor_b64 s[0:1], exec, s[4:5]
; %bb.10:
	v_add_u32_e32 v66, 27, v62
	v_add_u32_e32 v68, 54, v62
	;; [unrolled: 1-line block ×4, first 2 shown]
; %bb.11:
	s_or_saveexec_b64 s[4:5], s[0:1]
	v_lshlrev_b64 v[60:61], 4, v[1:2]
                                        ; implicit-def: $vgpr2_vgpr3
                                        ; implicit-def: $vgpr6_vgpr7
                                        ; implicit-def: $vgpr10_vgpr11
                                        ; implicit-def: $vgpr14_vgpr15
                                        ; implicit-def: $vgpr18_vgpr19
                                        ; implicit-def: $vgpr22_vgpr23
                                        ; implicit-def: $vgpr26_vgpr27
                                        ; implicit-def: $vgpr30_vgpr31
                                        ; implicit-def: $vgpr34_vgpr35
                                        ; implicit-def: $vgpr38_vgpr39
                                        ; implicit-def: $vgpr42_vgpr43
                                        ; implicit-def: $vgpr46_vgpr47
                                        ; implicit-def: $vgpr50_vgpr51
                                        ; implicit-def: $vgpr54_vgpr55
                                        ; implicit-def: $vgpr58_vgpr59
	s_xor_b64 exec, exec, s[4:5]
	s_cbranch_execz .LBB0_13
; %bb.12:
	v_mad_u64_u32 v[0:1], s[0:1], s2, v62, 0
	v_add_u32_e32 v65, 0x51, v62
	v_mov_b32_e32 v4, s13
	v_mad_u64_u32 v[1:2], s[0:1], s3, v62, v[1:2]
	v_mad_u64_u32 v[2:3], s[0:1], s2, v65, 0
	v_add_co_u32_e64 v8, s[0:1], s12, v60
	v_addc_co_u32_e64 v9, s[0:1], v4, v61, s[0:1]
	v_mad_u64_u32 v[3:4], s[0:1], s3, v65, v[3:4]
	v_add_u32_e32 v6, 0xa2, v62
	v_mad_u64_u32 v[4:5], s[0:1], s2, v6, 0
	v_lshlrev_b64 v[0:1], 4, v[0:1]
	v_add_u32_e32 v67, 0x6c, v62
	v_add_co_u32_e64 v70, s[0:1], v8, v0
	v_addc_co_u32_e64 v71, s[0:1], v9, v1, s[0:1]
	v_lshlrev_b64 v[0:1], 4, v[2:3]
	v_mov_b32_e32 v2, v5
	v_mad_u64_u32 v[2:3], s[0:1], s3, v6, v[2:3]
	v_add_u32_e32 v3, 0xf3, v62
	v_mad_u64_u32 v[6:7], s[0:1], s2, v3, 0
	v_add_co_u32_e64 v72, s[0:1], v8, v0
	v_mov_b32_e32 v5, v2
	v_mov_b32_e32 v2, v7
	v_addc_co_u32_e64 v73, s[0:1], v9, v1, s[0:1]
	v_lshlrev_b64 v[0:1], 4, v[4:5]
	v_mad_u64_u32 v[2:3], s[0:1], s3, v3, v[2:3]
	v_add_u32_e32 v5, 0x144, v62
	v_mad_u64_u32 v[3:4], s[0:1], s2, v5, 0
	v_add_co_u32_e64 v74, s[0:1], v8, v0
	v_mov_b32_e32 v7, v2
	v_mov_b32_e32 v2, v4
	v_addc_co_u32_e64 v75, s[0:1], v9, v1, s[0:1]
	v_mad_u64_u32 v[4:5], s[0:1], s3, v5, v[2:3]
	v_lshlrev_b64 v[0:1], 4, v[6:7]
	v_mad_u64_u32 v[5:6], s[0:1], s2, v64, 0
	v_add_co_u32_e64 v76, s[0:1], v8, v0
	v_mov_b32_e32 v2, v6
	v_addc_co_u32_e64 v77, s[0:1], v9, v1, s[0:1]
	v_lshlrev_b64 v[0:1], 4, v[3:4]
	v_mad_u64_u32 v[2:3], s[0:1], s3, v64, v[2:3]
	v_mad_u64_u32 v[3:4], s[0:1], s2, v67, 0
	v_add_co_u32_e64 v78, s[0:1], v8, v0
	v_mov_b32_e32 v6, v2
	v_mov_b32_e32 v2, v4
	v_addc_co_u32_e64 v79, s[0:1], v9, v1, s[0:1]
	v_lshlrev_b64 v[0:1], 4, v[5:6]
	v_mad_u64_u32 v[4:5], s[0:1], s3, v67, v[2:3]
	v_add_u32_e32 v7, 0xbd, v62
	v_mad_u64_u32 v[5:6], s[0:1], s2, v7, 0
	v_add_co_u32_e64 v80, s[0:1], v8, v0
	v_mov_b32_e32 v2, v6
	v_addc_co_u32_e64 v81, s[0:1], v9, v1, s[0:1]
	v_lshlrev_b64 v[0:1], 4, v[3:4]
	v_mad_u64_u32 v[2:3], s[0:1], s3, v7, v[2:3]
	v_add_u32_e32 v7, 0x10e, v62
	v_mad_u64_u32 v[3:4], s[0:1], s2, v7, 0
	v_add_co_u32_e64 v82, s[0:1], v8, v0
	v_mov_b32_e32 v6, v2
	v_mov_b32_e32 v2, v4
	v_addc_co_u32_e64 v83, s[0:1], v9, v1, s[0:1]
	v_lshlrev_b64 v[0:1], 4, v[5:6]
	v_mad_u64_u32 v[4:5], s[0:1], s3, v7, v[2:3]
	v_add_u32_e32 v7, 0x15f, v62
	v_mad_u64_u32 v[5:6], s[0:1], s2, v7, 0
	v_add_co_u32_e64 v84, s[0:1], v8, v0
	v_mov_b32_e32 v2, v6
	v_addc_co_u32_e64 v85, s[0:1], v9, v1, s[0:1]
	v_lshlrev_b64 v[0:1], 4, v[3:4]
	v_mad_u64_u32 v[2:3], s[0:1], s3, v7, v[2:3]
	v_mad_u64_u32 v[3:4], s[0:1], s2, v63, 0
	v_add_co_u32_e64 v86, s[0:1], v8, v0
	v_mov_b32_e32 v6, v2
	v_mov_b32_e32 v2, v4
	v_addc_co_u32_e64 v87, s[0:1], v9, v1, s[0:1]
	v_lshlrev_b64 v[0:1], 4, v[5:6]
	v_mad_u64_u32 v[4:5], s[0:1], s3, v63, v[2:3]
	v_add_u32_e32 v7, 0x87, v62
	v_mad_u64_u32 v[5:6], s[0:1], s2, v7, 0
	v_add_co_u32_e64 v88, s[0:1], v8, v0
	v_mov_b32_e32 v2, v6
	v_addc_co_u32_e64 v89, s[0:1], v9, v1, s[0:1]
	v_lshlrev_b64 v[0:1], 4, v[3:4]
	v_mad_u64_u32 v[2:3], s[0:1], s3, v7, v[2:3]
	v_add_u32_e32 v7, 0xd8, v62
	v_mad_u64_u32 v[3:4], s[0:1], s2, v7, 0
	v_add_co_u32_e64 v90, s[0:1], v8, v0
	v_mov_b32_e32 v6, v2
	v_mov_b32_e32 v2, v4
	v_addc_co_u32_e64 v91, s[0:1], v9, v1, s[0:1]
	v_lshlrev_b64 v[0:1], 4, v[5:6]
	v_mad_u64_u32 v[4:5], s[0:1], s3, v7, v[2:3]
	v_add_u32_e32 v7, 0x129, v62
	v_mad_u64_u32 v[5:6], s[0:1], s2, v7, 0
	v_add_co_u32_e64 v92, s[0:1], v8, v0
	v_mov_b32_e32 v2, v6
	v_addc_co_u32_e64 v93, s[0:1], v9, v1, s[0:1]
	v_lshlrev_b64 v[0:1], 4, v[3:4]
	v_mad_u64_u32 v[2:3], s[0:1], s3, v7, v[2:3]
	v_add_u32_e32 v7, 0x17a, v62
	v_mad_u64_u32 v[3:4], s[0:1], s2, v7, 0
	v_add_co_u32_e64 v94, s[0:1], v8, v0
	v_mov_b32_e32 v6, v2
	v_mov_b32_e32 v2, v4
	v_addc_co_u32_e64 v95, s[0:1], v9, v1, s[0:1]
	v_lshlrev_b64 v[0:1], 4, v[5:6]
	v_mad_u64_u32 v[4:5], s[0:1], s3, v7, v[2:3]
	v_add_co_u32_e64 v96, s[0:1], v8, v0
	v_addc_co_u32_e64 v97, s[0:1], v9, v1, s[0:1]
	v_lshlrev_b64 v[0:1], 4, v[3:4]
	v_mov_b32_e32 v68, v63
	v_add_co_u32_e64 v98, s[0:1], v8, v0
	v_addc_co_u32_e64 v99, s[0:1], v9, v1, s[0:1]
	global_load_dwordx4 v[56:59], v[70:71], off
	global_load_dwordx4 v[52:55], v[72:73], off
	;; [unrolled: 1-line block ×15, first 2 shown]
	v_mov_b32_e32 v66, v64
.LBB0_13:
	s_or_b64 exec, exec, s[4:5]
	s_waitcnt vmcnt(13)
	v_add_f64 v[78:79], v[52:53], v[56:57]
	v_add_f64 v[80:81], v[54:55], v[58:59]
	s_waitcnt vmcnt(11)
	v_add_f64 v[70:71], v[44:45], v[48:49]
	s_waitcnt vmcnt(10)
	v_add_f64 v[72:73], v[40:41], v[52:53]
	v_add_f64 v[74:75], v[46:47], v[50:51]
	;; [unrolled: 1-line block ×3, first 2 shown]
	v_add_f64 v[82:83], v[48:49], -v[52:53]
	v_add_f64 v[84:85], v[54:55], -v[50:51]
	v_add_f64 v[78:79], v[48:49], v[78:79]
	v_add_f64 v[80:81], v[50:51], v[80:81]
	v_fma_f64 v[70:71], v[70:71], -0.5, v[56:57]
	v_fma_f64 v[72:73], v[72:73], -0.5, v[56:57]
	;; [unrolled: 1-line block ×4, first 2 shown]
	v_add_f64 v[74:75], v[54:55], -v[42:43]
	v_add_f64 v[76:77], v[52:53], -v[48:49]
	v_add_f64 v[78:79], v[44:45], v[78:79]
	v_add_f64 v[80:81], v[46:47], v[80:81]
	v_add_f64 v[52:53], v[52:53], -v[40:41]
	v_add_f64 v[54:55], v[50:51], -v[54:55]
	v_add_f64 v[50:51], v[50:51], -v[46:47]
	v_add_f64 v[48:49], v[48:49], -v[44:45]
	v_add_f64 v[86:87], v[40:41], -v[44:45]
	v_add_f64 v[44:45], v[44:45], -v[40:41]
	v_add_f64 v[88:89], v[42:43], -v[46:47]
	v_add_f64 v[46:47], v[46:47], -v[42:43]
	v_add_f64 v[40:41], v[40:41], v[78:79]
	v_add_f64 v[42:43], v[42:43], v[80:81]
	s_waitcnt vmcnt(8)
	v_add_f64 v[78:79], v[32:33], v[36:37]
	v_add_f64 v[80:81], v[34:35], v[38:39]
	s_waitcnt vmcnt(6)
	v_add_f64 v[90:91], v[24:25], v[28:29]
	s_waitcnt vmcnt(5)
	v_add_f64 v[92:93], v[20:21], v[32:33]
	v_add_f64 v[94:95], v[26:27], v[30:31]
	;; [unrolled: 1-line block ×3, first 2 shown]
	v_add_f64 v[98:99], v[28:29], -v[32:33]
	v_add_f64 v[100:101], v[34:35], -v[30:31]
	v_add_f64 v[78:79], v[28:29], v[78:79]
	v_add_f64 v[80:81], v[30:31], v[80:81]
	v_fma_f64 v[90:91], v[90:91], -0.5, v[36:37]
	v_fma_f64 v[36:37], v[92:93], -0.5, v[36:37]
	;; [unrolled: 1-line block ×4, first 2 shown]
	v_add_f64 v[38:39], v[34:35], -v[22:23]
	v_add_f64 v[96:97], v[32:33], -v[28:29]
	;; [unrolled: 1-line block ×4, first 2 shown]
	v_add_f64 v[28:29], v[24:25], v[78:79]
	v_add_f64 v[34:35], v[26:27], v[80:81]
	v_add_f64 v[32:33], v[32:33], -v[20:21]
	v_add_f64 v[78:79], v[20:21], -v[24:25]
	v_add_f64 v[24:25], v[24:25], -v[20:21]
	v_add_f64 v[80:81], v[22:23], -v[26:27]
	v_add_f64 v[106:107], v[26:27], -v[22:23]
	v_add_f64 v[30:31], v[30:31], -v[26:27]
	v_add_f64 v[20:21], v[20:21], v[28:29]
	v_add_f64 v[114:115], v[22:23], v[34:35]
	s_waitcnt vmcnt(3)
	v_add_f64 v[22:23], v[12:13], v[16:17]
	v_add_f64 v[28:29], v[14:15], v[18:19]
	s_waitcnt vmcnt(1)
	v_add_f64 v[26:27], v[4:5], v[8:9]
	s_waitcnt vmcnt(0)
	v_add_f64 v[108:109], v[0:1], v[12:13]
	v_add_f64 v[110:111], v[6:7], v[10:11]
	;; [unrolled: 1-line block ×3, first 2 shown]
	s_mov_b32 s4, 0x134454ff
	s_mov_b32 s5, 0x3fee6f0e
	v_add_f64 v[22:23], v[8:9], v[22:23]
	v_add_f64 v[28:29], v[10:11], v[28:29]
	v_fma_f64 v[26:27], v[26:27], -0.5, v[16:17]
	v_fma_f64 v[16:17], v[108:109], -0.5, v[16:17]
	;; [unrolled: 1-line block ×4, first 2 shown]
	v_add_f64 v[34:35], v[12:13], -v[8:9]
	v_add_f64 v[112:113], v[8:9], -v[12:13]
	;; [unrolled: 1-line block ×4, first 2 shown]
	v_add_f64 v[8:9], v[4:5], v[22:23]
	v_add_f64 v[12:13], v[6:7], v[28:29]
	v_fma_f64 v[22:23], v[74:75], s[4:5], v[70:71]
	s_mov_b32 s0, 0x4755a5e
	s_mov_b32 s11, 0xbfee6f0e
	;; [unrolled: 1-line block ×4, first 2 shown]
	v_fma_f64 v[28:29], v[74:75], s[10:11], v[70:71]
	v_add_f64 v[18:19], v[14:15], -v[2:3]
	v_add_f64 v[118:119], v[14:15], -v[10:11]
	;; [unrolled: 1-line block ×5, first 2 shown]
	v_add_f64 v[0:1], v[0:1], v[8:9]
	v_add_f64 v[126:127], v[2:3], v[12:13]
	v_fma_f64 v[8:9], v[50:51], s[0:1], v[22:23]
	v_fma_f64 v[12:13], v[50:51], s[10:11], v[72:73]
	;; [unrolled: 1-line block ×3, first 2 shown]
	s_mov_b32 s15, 0xbfe2cf23
	s_mov_b32 s14, s0
	v_add_f64 v[10:11], v[10:11], -v[6:7]
	v_add_f64 v[124:125], v[2:3], -v[6:7]
	v_add_f64 v[6:7], v[6:7], -v[2:3]
	v_add_f64 v[2:3], v[86:87], v[76:77]
	v_fma_f64 v[28:29], v[50:51], s[14:15], v[28:29]
	v_add_f64 v[44:45], v[44:45], v[82:83]
	v_fma_f64 v[12:13], v[74:75], s[0:1], v[12:13]
	v_fma_f64 v[22:23], v[74:75], s[14:15], v[22:23]
	s_mov_b32 s6, 0x372fe950
	s_mov_b32 s7, 0x3fd3c6ef
	v_fma_f64 v[50:51], v[38:39], s[4:5], v[90:91]
	v_fma_f64 v[70:71], v[2:3], s[6:7], v[8:9]
	;; [unrolled: 1-line block ×6, first 2 shown]
	v_and_b32_e32 v8, 3, v69
	v_mul_u32_u24_e32 v8, 0x195, v8
	v_lshlrev_b32_e32 v9, 3, v8
	v_add_u32_e32 v8, 0, v9
	v_mad_u32_u24 v77, v62, 40, v8
	ds_write2_b64 v77, v[40:41], v[70:71] offset1:1
	ds_write2_b64 v77, v[12:13], v[22:23] offset0:2 offset1:3
	v_fma_f64 v[12:13], v[30:31], s[4:5], v[36:37]
	v_add_f64 v[22:23], v[24:25], v[98:99]
	v_fma_f64 v[24:25], v[38:39], s[0:1], v[28:29]
	v_fma_f64 v[28:29], v[38:39], s[10:11], v[90:91]
	;; [unrolled: 1-line block ×3, first 2 shown]
	v_add_f64 v[44:45], v[78:79], v[96:97]
	v_fma_f64 v[50:51], v[30:31], s[0:1], v[50:51]
	v_fma_f64 v[26:27], v[18:19], s[10:11], v[26:27]
	;; [unrolled: 1-line block ×8, first 2 shown]
	v_add_f64 v[14:15], v[14:15], v[34:35]
	ds_write_b64 v77, v[2:3] offset:32
	v_fma_f64 v[2:3], v[44:45], s[6:7], v[50:51]
	v_add_f64 v[4:5], v[4:5], v[112:113]
	v_fma_f64 v[34:35], v[18:19], s[0:1], v[38:39]
	v_fma_f64 v[16:17], v[18:19], s[14:15], v[16:17]
	;; [unrolled: 1-line block ×3, first 2 shown]
	v_add_f64 v[44:45], v[88:89], v[84:85]
	v_fma_f64 v[28:29], v[48:49], s[14:15], v[36:37]
	v_fma_f64 v[10:11], v[10:11], s[14:15], v[26:27]
	;; [unrolled: 1-line block ×12, first 2 shown]
	v_add_f64 v[46:47], v[46:47], v[54:55]
	v_fma_f64 v[54:55], v[52:53], s[14:15], v[69:70]
	v_fma_f64 v[52:53], v[52:53], s[0:1], v[58:59]
	v_mad_i32_i24 v78, v66, 40, v8
	v_mad_i32_i24 v79, v68, 40, v8
	ds_write2_b64 v78, v[20:21], v[2:3] offset1:1
	ds_write2_b64 v78, v[24:25], v[12:13] offset0:2 offset1:3
	ds_write_b64 v78, v[18:19] offset:32
	ds_write2_b64 v79, v[0:1], v[22:23] offset1:1
	v_lshlrev_b32_e32 v0, 3, v62
	v_add_u32_e32 v34, v8, v0
	v_add3_u32 v38, 0, v0, v9
	v_lshlrev_b32_e32 v0, 5, v66
	v_sub_u32_e32 v35, v78, v0
	v_add_u32_e32 v40, 0x800, v38
	v_lshlrev_b32_e32 v0, 5, v68
	ds_write2_b64 v79, v[26:27], v[4:5] offset0:2 offset1:3
	ds_write_b64 v79, v[10:11] offset:32
	s_waitcnt lgkmcnt(0)
	s_barrier
	v_add_u32_e32 v39, 0x400, v38
	v_sub_u32_e32 v36, v79, v0
	v_lshl_add_u32 v37, v65, 3, v8
	v_lshl_add_u32 v41, v67, 3, v8
	ds_read_b64 v[112:113], v34
	ds_read_b64 v[128:129], v35
	;; [unrolled: 1-line block ×5, first 2 shown]
	ds_read2_b64 v[11:14], v38 offset0:135 offset1:162
	ds_read2_b64 v[15:18], v39 offset0:115 offset1:142
	;; [unrolled: 1-line block ×5, first 2 shown]
	s_waitcnt lgkmcnt(0)
	v_fma_f64 v[48:49], v[48:49], s[0:1], v[56:57]
	s_barrier
	ds_write2_b64 v77, v[42:43], v[50:51] offset1:1
	v_fma_f64 v[42:43], v[32:33], s[10:11], v[92:93]
	v_fma_f64 v[50:51], v[32:33], s[4:5], v[92:93]
	;; [unrolled: 1-line block ×11, first 2 shown]
	v_add_f64 v[48:49], v[80:81], v[100:101]
	v_fma_f64 v[42:43], v[104:105], s[14:15], v[42:43]
	v_fma_f64 v[50:51], v[104:105], s[0:1], v[50:51]
	v_add_f64 v[58:59], v[106:107], v[102:103]
	v_fma_f64 v[52:53], v[32:33], s[14:15], v[52:53]
	v_fma_f64 v[31:32], v[32:33], s[0:1], v[56:57]
	v_add_f64 v[56:57], v[124:125], v[118:119]
	v_fma_f64 v[71:72], v[122:123], s[14:15], v[71:72]
	v_add_f64 v[6:7], v[6:7], v[120:121]
	v_fma_f64 v[69:70], v[116:117], s[14:15], v[69:70]
	v_fma_f64 v[73:74], v[116:117], s[0:1], v[73:74]
	;; [unrolled: 1-line block ×11, first 2 shown]
	s_movk_i32 s0, 0xcd
	ds_write2_b64 v77, v[54:55], v[46:47] offset0:2 offset1:3
	ds_write_b64 v77, v[44:45] offset:32
	ds_write2_b64 v78, v[114:115], v[42:43] offset1:1
	ds_write2_b64 v78, v[50:51], v[31:32] offset0:2 offset1:3
	ds_write_b64 v78, v[48:49] offset:32
	ds_write2_b64 v79, v[126:127], v[58:59] offset1:1
	ds_write2_b64 v79, v[52:53], v[6:7] offset0:2 offset1:3
	ds_write_b64 v79, v[56:57] offset:32
	v_mul_lo_u16_sdwa v6, v62, s0 dst_sel:DWORD dst_unused:UNUSED_PAD src0_sel:BYTE_0 src1_sel:DWORD
	v_lshrrev_b16_e32 v33, 10, v6
	v_mul_lo_u16_sdwa v7, v66, s0 dst_sel:DWORD dst_unused:UNUSED_PAD src0_sel:BYTE_0 src1_sel:DWORD
	v_mul_lo_u16_e32 v6, 5, v33
	v_lshrrev_b16_e32 v102, 10, v7
	v_sub_u16_e32 v101, v62, v6
	v_mov_b32_e32 v10, 5
	v_mul_lo_u16_e32 v7, 5, v102
	v_lshlrev_b32_sdwa v6, v10, v101 dst_sel:DWORD dst_unused:UNUSED_PAD src0_sel:DWORD src1_sel:BYTE_0
	v_sub_u16_e32 v103, v66, v7
	s_waitcnt lgkmcnt(0)
	s_barrier
	global_load_dwordx4 v[42:45], v6, s[8:9]
	v_lshlrev_b32_sdwa v7, v10, v103 dst_sel:DWORD dst_unused:UNUSED_PAD src0_sel:DWORD src1_sel:BYTE_0
	global_load_dwordx4 v[46:49], v7, s[8:9]
	global_load_dwordx4 v[50:53], v7, s[8:9] offset:16
	v_mul_lo_u16_sdwa v7, v68, s0 dst_sel:DWORD dst_unused:UNUSED_PAD src0_sel:BYTE_0 src1_sel:DWORD
	v_lshrrev_b16_e32 v104, 10, v7
	v_mul_lo_u16_e32 v7, 5, v104
	v_sub_u16_e32 v105, v68, v7
	v_lshlrev_b32_sdwa v7, v10, v105 dst_sel:DWORD dst_unused:UNUSED_PAD src0_sel:DWORD src1_sel:BYTE_0
	global_load_dwordx4 v[54:57], v7, s[8:9] offset:16
	global_load_dwordx4 v[69:72], v7, s[8:9]
	v_mul_lo_u16_sdwa v7, v65, s0 dst_sel:DWORD dst_unused:UNUSED_PAD src0_sel:BYTE_0 src1_sel:DWORD
	v_lshrrev_b16_e32 v106, 10, v7
	v_mul_lo_u16_e32 v7, 5, v106
	v_sub_u16_e32 v107, v65, v7
	v_lshlrev_b32_sdwa v7, v10, v107 dst_sel:DWORD dst_unused:UNUSED_PAD src0_sel:DWORD src1_sel:BYTE_0
	global_load_dwordx4 v[73:76], v7, s[8:9]
	global_load_dwordx4 v[77:80], v6, s[8:9] offset:16
	v_mul_lo_u16_sdwa v6, v67, s0 dst_sel:DWORD dst_unused:UNUSED_PAD src0_sel:BYTE_0 src1_sel:DWORD
	v_lshrrev_b16_e32 v108, 10, v6
	v_mul_lo_u16_e32 v6, 5, v108
	v_sub_u16_e32 v109, v67, v6
	v_lshlrev_b32_sdwa v6, v10, v109 dst_sel:DWORD dst_unused:UNUSED_PAD src0_sel:DWORD src1_sel:BYTE_0
	global_load_dwordx4 v[81:84], v6, s[8:9]
	global_load_dwordx4 v[85:88], v7, s[8:9] offset:16
	global_load_dwordx4 v[89:92], v6, s[8:9] offset:16
	ds_read2_b64 v[93:96], v38 offset0:135 offset1:162
	ds_read2_b64 v[97:100], v40 offset0:41 offset1:68
	s_movk_i32 s0, 0x78
	s_mov_b32 s4, 0xe8584caa
	s_mov_b32 s5, 0x3febb67a
	;; [unrolled: 1-line block ×4, first 2 shown]
	s_waitcnt vmcnt(9) lgkmcnt(1)
	v_mul_f64 v[6:7], v[93:94], v[44:45]
	v_mul_f64 v[31:32], v[11:12], v[44:45]
	s_waitcnt vmcnt(8)
	v_mul_f64 v[44:45], v[95:96], v[48:49]
	v_mul_f64 v[48:49], v[13:14], v[48:49]
	s_waitcnt vmcnt(7) lgkmcnt(0)
	v_mul_f64 v[58:59], v[97:98], v[52:53]
	v_fma_f64 v[6:7], v[11:12], v[42:43], -v[6:7]
	v_fma_f64 v[31:32], v[93:94], v[42:43], v[31:32]
	v_fma_f64 v[42:43], v[13:14], v[46:47], -v[44:45]
	v_mul_f64 v[44:45], v[19:20], v[52:53]
	ds_read2_b64 v[11:14], v38 offset0:189 offset1:216
	s_waitcnt vmcnt(6)
	v_mul_f64 v[52:53], v[99:100], v[56:57]
	v_fma_f64 v[46:47], v[95:96], v[46:47], v[48:49]
	v_fma_f64 v[48:49], v[19:20], v[50:51], -v[58:59]
	v_mul_f64 v[56:57], v[21:22], v[56:57]
	s_waitcnt vmcnt(5) lgkmcnt(0)
	v_mul_f64 v[58:59], v[11:12], v[71:72]
	v_mul_f64 v[71:72], v[23:24], v[71:72]
	v_fma_f64 v[44:45], v[97:98], v[50:51], v[44:45]
	s_waitcnt vmcnt(4)
	v_mul_f64 v[93:94], v[13:14], v[75:76]
	v_fma_f64 v[50:51], v[21:22], v[54:55], -v[52:53]
	ds_read2_b64 v[19:22], v39 offset0:115 offset1:142
	v_mul_f64 v[52:53], v[25:26], v[75:76]
	v_fma_f64 v[54:55], v[99:100], v[54:55], v[56:57]
	v_fma_f64 v[56:57], v[23:24], v[69:70], -v[58:59]
	v_fma_f64 v[58:59], v[11:12], v[69:70], v[71:72]
	s_waitcnt vmcnt(3) lgkmcnt(0)
	v_mul_f64 v[11:12], v[21:22], v[79:80]
	v_mul_f64 v[71:72], v[17:18], v[79:80]
	v_fma_f64 v[69:70], v[25:26], v[73:74], -v[93:94]
	ds_read2_b64 v[23:26], v40 offset0:95 offset1:122
	v_fma_f64 v[52:53], v[13:14], v[73:74], v[52:53]
	s_waitcnt vmcnt(2)
	v_mul_f64 v[13:14], v[19:20], v[83:84]
	v_mul_f64 v[73:74], v[15:16], v[83:84]
	s_waitcnt vmcnt(1)
	v_mul_f64 v[79:80], v[27:28], v[87:88]
	v_fma_f64 v[17:18], v[17:18], v[77:78], -v[11:12]
	s_waitcnt lgkmcnt(0)
	v_mul_f64 v[75:76], v[23:24], v[87:88]
	s_waitcnt vmcnt(0)
	v_mul_f64 v[11:12], v[29:30], v[91:92]
	v_fma_f64 v[21:22], v[21:22], v[77:78], v[71:72]
	v_mul_f64 v[83:84], v[25:26], v[91:92]
	v_fma_f64 v[71:72], v[15:16], v[81:82], -v[13:14]
	v_fma_f64 v[19:20], v[19:20], v[81:82], v[73:74]
	v_add_f64 v[15:16], v[112:113], v[6:7]
	v_add_f64 v[13:14], v[6:7], v[17:18]
	v_fma_f64 v[73:74], v[27:28], v[85:86], -v[75:76]
	v_fma_f64 v[75:76], v[23:24], v[85:86], v[79:80]
	v_fma_f64 v[79:80], v[25:26], v[89:90], v[11:12]
	v_mov_b32_e32 v11, 3
	v_mad_u32_u24 v12, v33, s0, 0
	v_lshlrev_b32_sdwa v23, v11, v101 dst_sel:DWORD dst_unused:UNUSED_PAD src0_sel:DWORD src1_sel:BYTE_0
	v_add3_u32 v110, v12, v23, v9
	v_fma_f64 v[12:13], v[13:14], -0.5, v[112:113]
	v_add_f64 v[23:24], v[31:32], -v[21:22]
	v_add_f64 v[25:26], v[42:43], v[48:49]
	v_fma_f64 v[77:78], v[29:30], v[89:90], -v[83:84]
	v_add_f64 v[14:15], v[15:16], v[17:18]
	v_add_f64 v[89:90], v[46:47], -v[44:45]
	v_add_f64 v[91:92], v[56:57], v[50:51]
	ds_read_b64 v[27:28], v34
	ds_read_b64 v[81:82], v35
	;; [unrolled: 1-line block ×5, first 2 shown]
	s_waitcnt lgkmcnt(0)
	v_fma_f64 v[29:30], v[23:24], s[4:5], v[12:13]
	v_fma_f64 v[12:13], v[23:24], s[6:7], v[12:13]
	v_fma_f64 v[23:24], v[25:26], -0.5, v[128:129]
	v_add_f64 v[25:26], v[128:129], v[42:43]
	s_barrier
	ds_write2_b64 v110, v[14:15], v[29:30] offset1:5
	ds_write_b64 v110, v[12:13] offset:80
	v_add_f64 v[29:30], v[58:59], -v[54:55]
	v_fma_f64 v[14:15], v[89:90], s[4:5], v[23:24]
	v_add_f64 v[12:13], v[25:26], v[48:49]
	v_fma_f64 v[23:24], v[89:90], s[6:7], v[23:24]
	v_fma_f64 v[25:26], v[91:92], -0.5, v[4:5]
	v_add_f64 v[4:5], v[4:5], v[56:57]
	v_add_f64 v[89:90], v[69:70], v[73:74]
	v_mad_u32_u24 v16, v102, s0, 0
	v_lshlrev_b32_sdwa v33, v11, v103 dst_sel:DWORD dst_unused:UNUSED_PAD src0_sel:DWORD src1_sel:BYTE_0
	v_add3_u32 v103, v16, v33, v9
	ds_write2_b64 v103, v[12:13], v[14:15] offset1:5
	ds_write_b64 v103, v[23:24] offset:80
	v_add_f64 v[23:24], v[52:53], -v[75:76]
	v_fma_f64 v[12:13], v[29:30], s[4:5], v[25:26]
	v_add_f64 v[4:5], v[4:5], v[50:51]
	v_fma_f64 v[14:15], v[89:90], -0.5, v[2:3]
	v_mad_u32_u24 v16, v104, s0, 0
	v_lshlrev_b32_sdwa v33, v11, v105 dst_sel:DWORD dst_unused:UNUSED_PAD src0_sel:DWORD src1_sel:BYTE_0
	v_add3_u32 v104, v16, v33, v9
	v_mad_u32_u24 v16, v106, s0, 0
	v_add_f64 v[2:3], v[2:3], v[69:70]
	v_add_f64 v[89:90], v[71:72], v[77:78]
	ds_write2_b64 v104, v[4:5], v[12:13] offset1:5
	v_fma_f64 v[4:5], v[23:24], s[4:5], v[14:15]
	v_fma_f64 v[14:15], v[23:24], s[6:7], v[14:15]
	v_lshlrev_b32_sdwa v23, v11, v107 dst_sel:DWORD dst_unused:UNUSED_PAD src0_sel:DWORD src1_sel:BYTE_0
	v_add3_u32 v105, v16, v23, v9
	v_add_f64 v[23:24], v[31:32], v[21:22]
	v_fma_f64 v[25:26], v[29:30], s[6:7], v[25:26]
	v_add_f64 v[2:3], v[2:3], v[73:74]
	v_fma_f64 v[12:13], v[89:90], -0.5, v[0:1]
	v_add_f64 v[0:1], v[0:1], v[71:72]
	v_add_f64 v[29:30], v[19:20], -v[79:80]
	v_add_f64 v[17:18], v[6:7], -v[17:18]
	v_add_f64 v[93:94], v[46:47], v[44:45]
	v_fma_f64 v[91:92], v[23:24], -0.5, v[27:28]
	ds_write_b64 v104, v[25:26] offset:80
	ds_write2_b64 v105, v[2:3], v[4:5] offset1:5
	v_add_f64 v[4:5], v[27:28], v[31:32]
	v_add_f64 v[0:1], v[0:1], v[77:78]
	v_fma_f64 v[2:3], v[29:30], s[4:5], v[12:13]
	v_fma_f64 v[12:13], v[29:30], s[6:7], v[12:13]
	v_add_f64 v[46:47], v[81:82], v[46:47]
	v_fma_f64 v[95:96], v[17:18], s[6:7], v[91:92]
	v_fma_f64 v[17:18], v[17:18], s[4:5], v[91:92]
	v_fma_f64 v[81:82], v[93:94], -0.5, v[81:82]
	v_add_f64 v[42:43], v[42:43], -v[48:49]
	ds_write_b64 v105, v[14:15] offset:80
	v_mad_u32_u24 v14, v108, s0, 0
	v_lshlrev_b32_sdwa v15, v11, v109 dst_sel:DWORD dst_unused:UNUSED_PAD src0_sel:DWORD src1_sel:BYTE_0
	v_add_f64 v[48:49], v[58:59], v[54:55]
	v_add3_u32 v106, v14, v15, v9
	ds_write2_b64 v106, v[0:1], v[2:3] offset1:5
	v_add_f64 v[89:90], v[4:5], v[21:22]
	ds_write_b64 v106, v[12:13] offset:80
	s_waitcnt lgkmcnt(0)
	s_barrier
	ds_read_b64 v[97:98], v34
	ds_read_b64 v[99:100], v35
	;; [unrolled: 1-line block ×5, first 2 shown]
	ds_read2_b64 v[4:7], v38 offset0:135 offset1:162
	ds_read2_b64 v[13:16], v39 offset0:115 offset1:142
	ds_read2_b64 v[22:25], v40 offset0:41 offset1:68
	ds_read2_b64 v[26:29], v38 offset0:189 offset1:216
	ds_read2_b64 v[30:33], v40 offset0:95 offset1:122
	s_waitcnt lgkmcnt(0)
	s_barrier
	ds_write_b64 v110, v[17:18] offset:80
	v_add_f64 v[17:18], v[46:47], v[44:45]
	v_add_f64 v[44:45], v[52:53], v[75:76]
	v_fma_f64 v[46:47], v[42:43], s[6:7], v[81:82]
	v_fma_f64 v[42:43], v[42:43], s[4:5], v[81:82]
	v_add_f64 v[81:82], v[19:20], v[79:80]
	v_add_f64 v[58:59], v[83:84], v[58:59]
	v_fma_f64 v[48:49], v[48:49], -0.5, v[83:84]
	v_add_f64 v[50:51], v[56:57], -v[50:51]
	v_add_f64 v[52:53], v[85:86], v[52:53]
	v_fma_f64 v[44:45], v[44:45], -0.5, v[85:86]
	v_add_f64 v[56:57], v[69:70], -v[73:74]
	;; [unrolled: 3-line block ×3, first 2 shown]
	v_add_f64 v[54:55], v[58:59], v[54:55]
	v_fma_f64 v[58:59], v[50:51], s[6:7], v[48:49]
	v_fma_f64 v[48:49], v[50:51], s[4:5], v[48:49]
	v_add_f64 v[50:51], v[52:53], v[75:76]
	v_fma_f64 v[52:53], v[56:57], s[6:7], v[44:45]
	v_fma_f64 v[44:45], v[56:57], s[4:5], v[44:45]
	v_add_f64 v[19:20], v[19:20], v[79:80]
	v_fma_f64 v[56:57], v[71:72], s[6:7], v[69:70]
	v_add_u32_e32 v12, -15, v62
	v_cmp_gt_u32_e64 s[0:1], 15, v62
	v_fma_f64 v[69:70], v[71:72], s[4:5], v[69:70]
	v_cndmask_b32_e64 v107, v12, v62, s[0:1]
	ds_write2_b64 v110, v[89:90], v[95:96] offset1:5
	ds_write2_b64 v103, v[17:18], v[46:47] offset1:5
	ds_write_b64 v103, v[42:43] offset:80
	ds_write2_b64 v104, v[54:55], v[58:59] offset1:5
	ds_write_b64 v104, v[48:49] offset:80
	;; [unrolled: 2-line block ×4, first 2 shown]
	v_lshlrev_b32_e32 v20, 1, v107
	v_mov_b32_e32 v21, 0
	v_lshlrev_b64 v[17:18], 4, v[20:21]
	v_mov_b32_e32 v12, s9
	v_add_co_u32_e64 v58, s[0:1], s8, v17
	v_addc_co_u32_e64 v59, s[0:1], v12, v18, s[0:1]
	s_waitcnt lgkmcnt(0)
	s_barrier
	global_load_dwordx4 v[17:20], v[58:59], off offset:160
	s_movk_i32 s0, 0x89
	v_mul_lo_u16_sdwa v42, v66, s0 dst_sel:DWORD dst_unused:UNUSED_PAD src0_sel:BYTE_0 src1_sel:DWORD
	v_lshrrev_b16_e32 v108, 11, v42
	v_mul_lo_u16_e32 v42, 15, v108
	v_sub_u16_e32 v109, v66, v42
	v_lshlrev_b32_sdwa v50, v10, v109 dst_sel:DWORD dst_unused:UNUSED_PAD src0_sel:DWORD src1_sel:BYTE_0
	global_load_dwordx4 v[42:45], v50, s[8:9] offset:160
	global_load_dwordx4 v[46:49], v50, s[8:9] offset:176
	v_mul_lo_u16_sdwa v50, v68, s0 dst_sel:DWORD dst_unused:UNUSED_PAD src0_sel:BYTE_0 src1_sel:DWORD
	v_lshrrev_b16_e32 v110, 11, v50
	v_mul_lo_u16_e32 v50, 15, v110
	v_sub_u16_e32 v111, v68, v50
	v_lshlrev_b32_sdwa v69, v10, v111 dst_sel:DWORD dst_unused:UNUSED_PAD src0_sel:DWORD src1_sel:BYTE_0
	global_load_dwordx4 v[50:53], v69, s[8:9] offset:176
	global_load_dwordx4 v[54:57], v69, s[8:9] offset:160
	v_mul_lo_u16_sdwa v69, v65, s0 dst_sel:DWORD dst_unused:UNUSED_PAD src0_sel:BYTE_0 src1_sel:DWORD
	v_lshrrev_b16_e32 v112, 11, v69
	v_mul_lo_u16_e32 v69, 15, v112
	v_sub_u16_e32 v113, v65, v69
	v_lshlrev_b32_sdwa v89, v10, v113 dst_sel:DWORD dst_unused:UNUSED_PAD src0_sel:DWORD src1_sel:BYTE_0
	global_load_dwordx4 v[69:72], v89, s[8:9] offset:160
	global_load_dwordx4 v[73:76], v[58:59], off offset:176
	v_mul_lo_u16_sdwa v58, v67, s0 dst_sel:DWORD dst_unused:UNUSED_PAD src0_sel:BYTE_0 src1_sel:DWORD
	v_lshrrev_b16_e32 v114, 11, v58
	v_mul_lo_u16_e32 v58, 15, v114
	v_sub_u16_e32 v115, v67, v58
	v_lshlrev_b32_sdwa v58, v10, v115 dst_sel:DWORD dst_unused:UNUSED_PAD src0_sel:DWORD src1_sel:BYTE_0
	global_load_dwordx4 v[77:80], v58, s[8:9] offset:160
	global_load_dwordx4 v[81:84], v89, s[8:9] offset:176
	;; [unrolled: 1-line block ×3, first 2 shown]
	ds_read2_b64 v[89:92], v38 offset0:135 offset1:162
	ds_read2_b64 v[93:96], v40 offset0:41 offset1:68
	v_cmp_lt_u32_e64 s[0:1], 14, v62
	s_waitcnt vmcnt(9) lgkmcnt(1)
	v_mul_f64 v[58:59], v[89:90], v[19:20]
	v_mul_f64 v[19:20], v[4:5], v[19:20]
	s_waitcnt vmcnt(8)
	v_mul_f64 v[103:104], v[91:92], v[44:45]
	v_mul_f64 v[44:45], v[6:7], v[44:45]
	v_fma_f64 v[58:59], v[4:5], v[17:18], -v[58:59]
	v_fma_f64 v[89:90], v[89:90], v[17:18], v[19:20]
	s_waitcnt vmcnt(7) lgkmcnt(0)
	v_mul_f64 v[17:18], v[93:94], v[48:49]
	v_mul_f64 v[19:20], v[22:23], v[48:49]
	v_fma_f64 v[103:104], v[6:7], v[42:43], -v[103:104]
	v_fma_f64 v[91:92], v[91:92], v[42:43], v[44:45]
	s_waitcnt vmcnt(6)
	v_mul_f64 v[42:43], v[95:96], v[52:53]
	ds_read2_b64 v[4:7], v38 offset0:189 offset1:216
	v_fma_f64 v[22:23], v[22:23], v[46:47], -v[17:18]
	v_fma_f64 v[93:94], v[93:94], v[46:47], v[19:20]
	ds_read2_b64 v[17:20], v39 offset0:115 offset1:142
	v_mul_f64 v[44:45], v[24:25], v[52:53]
	s_waitcnt vmcnt(5) lgkmcnt(1)
	v_mul_f64 v[48:49], v[4:5], v[56:57]
	v_mul_f64 v[52:53], v[26:27], v[56:57]
	v_fma_f64 v[105:106], v[24:25], v[50:51], -v[42:43]
	s_waitcnt vmcnt(3) lgkmcnt(0)
	v_mul_f64 v[24:25], v[19:20], v[75:76]
	v_mul_f64 v[56:57], v[6:7], v[71:72]
	v_mul_f64 v[71:72], v[28:29], v[71:72]
	s_waitcnt vmcnt(1)
	v_mul_f64 v[46:47], v[30:31], v[83:84]
	v_fma_f64 v[50:51], v[95:96], v[50:51], v[44:45]
	v_fma_f64 v[95:96], v[26:27], v[54:55], -v[48:49]
	v_mul_f64 v[26:27], v[15:16], v[75:76]
	v_fma_f64 v[52:53], v[4:5], v[54:55], v[52:53]
	v_fma_f64 v[15:16], v[15:16], v[73:74], -v[24:25]
	v_fma_f64 v[54:55], v[28:29], v[69:70], -v[56:57]
	v_fma_f64 v[56:57], v[6:7], v[69:70], v[71:72]
	ds_read2_b64 v[4:7], v40 offset0:95 offset1:122
	v_mul_f64 v[28:29], v[17:18], v[79:80]
	s_waitcnt vmcnt(0)
	v_mul_f64 v[69:70], v[32:33], v[87:88]
	v_fma_f64 v[19:20], v[19:20], v[73:74], v[26:27]
	v_mul_f64 v[42:43], v[13:14], v[79:80]
	s_waitcnt lgkmcnt(0)
	v_mul_f64 v[44:45], v[4:5], v[83:84]
	v_fma_f64 v[75:76], v[4:5], v[81:82], v[46:47]
	v_add_f64 v[4:5], v[58:59], v[15:16]
	v_mul_f64 v[48:49], v[6:7], v[87:88]
	v_fma_f64 v[71:72], v[13:14], v[77:78], -v[28:29]
	v_mov_b32_e32 v13, 0x168
	v_cndmask_b32_e64 v13, 0, v13, s[0:1]
	v_add_u32_e32 v13, 0, v13
	v_lshlrev_b32_e32 v14, 3, v107
	v_fma_f64 v[69:70], v[6:7], v[85:86], v[69:70]
	v_add_f64 v[6:7], v[97:98], v[58:59]
	v_add3_u32 v116, v13, v14, v9
	v_fma_f64 v[4:5], v[4:5], -0.5, v[97:98]
	v_add_f64 v[13:14], v[89:90], -v[19:20]
	v_add_f64 v[24:25], v[103:104], v[22:23]
	v_fma_f64 v[17:18], v[17:18], v[77:78], v[42:43]
	v_fma_f64 v[73:74], v[30:31], v[81:82], -v[44:45]
	v_add_f64 v[30:31], v[91:92], -v[93:94]
	v_add_f64 v[6:7], v[6:7], v[15:16]
	v_add_f64 v[42:43], v[95:96], v[105:106]
	ds_read_b64 v[26:27], v34
	ds_read_b64 v[77:78], v35
	;; [unrolled: 1-line block ×5, first 2 shown]
	v_fma_f64 v[28:29], v[13:14], s[4:5], v[4:5]
	v_fma_f64 v[4:5], v[13:14], s[6:7], v[4:5]
	v_fma_f64 v[13:14], v[24:25], -0.5, v[99:100]
	v_add_f64 v[24:25], v[99:100], v[103:104]
	s_waitcnt lgkmcnt(0)
	s_barrier
	ds_write2_b64 v116, v[6:7], v[28:29] offset1:15
	ds_write_b64 v116, v[4:5] offset:240
	v_add_f64 v[28:29], v[101:102], v[95:96]
	v_fma_f64 v[6:7], v[30:31], s[4:5], v[13:14]
	v_add_f64 v[4:5], v[24:25], v[22:23]
	v_fma_f64 v[13:14], v[30:31], s[6:7], v[13:14]
	v_fma_f64 v[24:25], v[42:43], -0.5, v[101:102]
	v_add_f64 v[30:31], v[52:53], -v[50:51]
	v_add_f64 v[42:43], v[54:55], v[73:74]
	s_movk_i32 s0, 0x168
	v_mad_u32_u24 v44, v108, s0, 0
	v_lshlrev_b32_sdwa v45, v11, v109 dst_sel:DWORD dst_unused:UNUSED_PAD src0_sel:DWORD src1_sel:BYTE_0
	v_add3_u32 v97, v44, v45, v9
	ds_write2_b64 v97, v[4:5], v[6:7] offset1:15
	ds_write_b64 v97, v[13:14] offset:240
	v_fma_f64 v[32:33], v[32:33], v[85:86], -v[48:49]
	v_fma_f64 v[6:7], v[30:31], s[4:5], v[24:25]
	v_fma_f64 v[24:25], v[30:31], s[6:7], v[24:25]
	v_add_f64 v[4:5], v[28:29], v[105:106]
	v_fma_f64 v[13:14], v[42:43], -0.5, v[2:3]
	v_add_f64 v[2:3], v[2:3], v[54:55]
	v_add_f64 v[28:29], v[56:57], -v[75:76]
	v_mad_u32_u24 v44, v110, s0, 0
	v_lshlrev_b32_sdwa v45, v11, v111 dst_sel:DWORD dst_unused:UNUSED_PAD src0_sel:DWORD src1_sel:BYTE_0
	v_add3_u32 v98, v44, v45, v9
	ds_write_b64 v98, v[24:25] offset:240
	v_mad_u32_u24 v24, v112, s0, 0
	v_lshlrev_b32_sdwa v25, v11, v113 dst_sel:DWORD dst_unused:UNUSED_PAD src0_sel:DWORD src1_sel:BYTE_0
	v_add_f64 v[42:43], v[71:72], v[32:33]
	ds_write2_b64 v98, v[4:5], v[6:7] offset1:15
	v_add_f64 v[2:3], v[2:3], v[73:74]
	v_fma_f64 v[4:5], v[28:29], s[4:5], v[13:14]
	v_add3_u32 v99, v24, v25, v9
	v_add_f64 v[24:25], v[89:90], v[19:20]
	v_add_f64 v[30:31], v[17:18], -v[69:70]
	v_add_f64 v[58:59], v[58:59], -v[15:16]
	v_fma_f64 v[6:7], v[42:43], -0.5, v[0:1]
	v_add_f64 v[0:1], v[0:1], v[71:72]
	v_add_f64 v[87:88], v[91:92], v[93:94]
	ds_write2_b64 v99, v[2:3], v[4:5] offset1:15
	v_add_f64 v[4:5], v[26:27], v[89:90]
	v_fma_f64 v[85:86], v[24:25], -0.5, v[26:27]
	v_fma_f64 v[13:14], v[28:29], s[6:7], v[13:14]
	v_add_f64 v[22:23], v[103:104], -v[22:23]
	v_fma_f64 v[2:3], v[30:31], s[4:5], v[6:7]
	v_add_f64 v[0:1], v[0:1], v[32:33]
	v_fma_f64 v[6:7], v[30:31], s[6:7], v[6:7]
	v_add_f64 v[54:55], v[54:55], -v[73:74]
	v_add_f64 v[19:20], v[4:5], v[19:20]
	v_fma_f64 v[89:90], v[58:59], s[6:7], v[85:86]
	v_fma_f64 v[58:59], v[58:59], s[4:5], v[85:86]
	v_add_f64 v[85:86], v[77:78], v[91:92]
	v_fma_f64 v[77:78], v[87:88], -0.5, v[77:78]
	ds_write_b64 v99, v[13:14] offset:240
	v_mad_u32_u24 v13, v114, s0, 0
	v_lshlrev_b32_sdwa v14, v11, v115 dst_sel:DWORD dst_unused:UNUSED_PAD src0_sel:DWORD src1_sel:BYTE_0
	v_add3_u32 v100, v13, v14, v9
	ds_write2_b64 v100, v[0:1], v[2:3] offset1:15
	ds_write_b64 v100, v[6:7] offset:240
	s_waitcnt lgkmcnt(0)
	s_barrier
	ds_read_b64 v[107:108], v34
	ds_read_b64 v[6:7], v35
	;; [unrolled: 1-line block ×5, first 2 shown]
	ds_read2_b64 v[13:16], v38 offset0:135 offset1:162
	ds_read2_b64 v[24:27], v39 offset0:115 offset1:142
	;; [unrolled: 1-line block ×5, first 2 shown]
	s_waitcnt lgkmcnt(0)
	s_barrier
	ds_write2_b64 v116, v[19:20], v[89:90] offset1:15
	v_add_f64 v[19:20], v[52:53], v[50:51]
	ds_write_b64 v116, v[58:59] offset:240
	v_add_f64 v[58:59], v[85:86], v[93:94]
	v_add_f64 v[85:86], v[56:57], v[75:76]
	v_fma_f64 v[87:88], v[22:23], s[6:7], v[77:78]
	v_fma_f64 v[22:23], v[22:23], s[4:5], v[77:78]
	v_add_f64 v[77:78], v[17:18], v[69:70]
	v_add_f64 v[52:53], v[79:80], v[52:53]
	v_fma_f64 v[19:20], v[19:20], -0.5, v[79:80]
	v_add_f64 v[79:80], v[95:96], -v[105:106]
	v_add_f64 v[56:57], v[81:82], v[56:57]
	v_fma_f64 v[81:82], v[85:86], -0.5, v[81:82]
	v_add_f64 v[17:18], v[83:84], v[17:18]
	v_add_f64 v[32:33], v[71:72], -v[32:33]
	v_fma_f64 v[73:74], v[77:78], -0.5, v[83:84]
	v_add_f64 v[50:51], v[52:53], v[50:51]
	v_fma_f64 v[52:53], v[79:80], s[6:7], v[19:20]
	v_fma_f64 v[19:20], v[79:80], s[4:5], v[19:20]
	v_add_f64 v[56:57], v[56:57], v[75:76]
	v_fma_f64 v[71:72], v[54:55], s[6:7], v[81:82]
	v_fma_f64 v[54:55], v[54:55], s[4:5], v[81:82]
	;; [unrolled: 3-line block ×3, first 2 shown]
	ds_write2_b64 v97, v[58:59], v[87:88] offset1:15
	ds_write_b64 v97, v[22:23] offset:240
	ds_write2_b64 v98, v[50:51], v[52:53] offset1:15
	ds_write_b64 v98, v[19:20] offset:240
	;; [unrolled: 2-line block ×4, first 2 shown]
	v_lshlrev_b32_e32 v20, 1, v62
	v_lshlrev_b64 v[17:18], 4, v[20:21]
	s_waitcnt lgkmcnt(0)
	v_add_co_u32_e64 v22, s[0:1], s8, v17
	v_addc_co_u32_e64 v23, s[0:1], v12, v18, s[0:1]
	v_subrev_u32_e32 v17, 18, v62
	v_cmp_gt_u32_e64 s[0:1], 18, v62
	v_cndmask_b32_e64 v109, v17, v66, s[0:1]
	v_lshlrev_b32_e32 v17, 1, v109
	v_mov_b32_e32 v18, v21
	v_lshlrev_b64 v[17:18], 4, v[17:18]
	s_barrier
	v_add_co_u32_e64 v17, s[0:1], s8, v17
	global_load_dwordx4 v[50:53], v[22:23], off offset:640
	v_addc_co_u32_e64 v18, s[0:1], v12, v18, s[0:1]
	global_load_dwordx4 v[54:57], v[17:18], off offset:640
	global_load_dwordx4 v[69:72], v[17:18], off offset:656
	v_add_u32_e32 v20, 18, v20
	v_lshlrev_b64 v[17:18], 4, v[20:21]
	v_add_co_u32_e64 v32, s[0:1], s8, v17
	v_addc_co_u32_e64 v33, s[0:1], v12, v18, s[0:1]
	global_load_dwordx4 v[17:20], v[32:33], off offset:656
	global_load_dwordx4 v[73:76], v[32:33], off offset:640
	;; [unrolled: 1-line block ×3, first 2 shown]
	s_movk_i32 s0, 0x6d
	v_mul_lo_u16_sdwa v12, v65, s0 dst_sel:DWORD dst_unused:UNUSED_PAD src0_sel:BYTE_0 src1_sel:DWORD
	v_sub_u16_sdwa v32, v65, v12 dst_sel:DWORD dst_unused:UNUSED_PAD src0_sel:DWORD src1_sel:BYTE_1
	v_lshrrev_b16_e32 v32, 1, v32
	v_and_b32_e32 v32, 0x7f, v32
	v_add_u16_sdwa v12, v32, v12 dst_sel:DWORD dst_unused:UNUSED_PAD src0_sel:DWORD src1_sel:BYTE_1
	v_lshrrev_b16_e32 v110, 5, v12
	v_mul_lo_u16_e32 v12, 45, v110
	v_sub_u16_e32 v111, v65, v12
	v_lshlrev_b32_sdwa v10, v10, v111 dst_sel:DWORD dst_unused:UNUSED_PAD src0_sel:DWORD src1_sel:BYTE_0
	global_load_dwordx4 v[81:84], v10, s[8:9] offset:640
	v_mul_lo_u16_sdwa v12, v67, s0 dst_sel:DWORD dst_unused:UNUSED_PAD src0_sel:BYTE_0 src1_sel:DWORD
	v_sub_u16_sdwa v32, v67, v12 dst_sel:DWORD dst_unused:UNUSED_PAD src0_sel:DWORD src1_sel:BYTE_1
	v_lshrrev_b16_e32 v32, 1, v32
	v_and_b32_e32 v32, 0x7f, v32
	v_add_u16_sdwa v12, v32, v12 dst_sel:DWORD dst_unused:UNUSED_PAD src0_sel:DWORD src1_sel:BYTE_1
	v_lshrrev_b16_e32 v12, 5, v12
	v_mul_lo_u16_e32 v12, 45, v12
	v_sub_u16_e32 v12, v67, v12
	v_and_b32_e32 v112, 0xff, v12
	v_lshlrev_b32_e32 v12, 5, v112
	global_load_dwordx4 v[85:88], v12, s[8:9] offset:640
	global_load_dwordx4 v[89:92], v10, s[8:9] offset:656
	;; [unrolled: 1-line block ×3, first 2 shown]
	ds_read2_b64 v[97:100], v38 offset0:135 offset1:162
	ds_read2_b64 v[101:104], v40 offset0:41 offset1:68
	v_mov_b32_e32 v10, 0x438
	v_cmp_lt_u32_e64 s[0:1], 17, v62
	v_cndmask_b32_e64 v10, 0, v10, s[0:1]
	v_add_u32_e32 v10, 0, v10
	s_movk_i32 s0, 0x438
	s_waitcnt vmcnt(9) lgkmcnt(1)
	v_mul_f64 v[32:33], v[97:98], v[52:53]
	v_mul_f64 v[52:53], v[13:14], v[52:53]
	s_waitcnt vmcnt(8)
	v_mul_f64 v[58:59], v[99:100], v[56:57]
	v_mul_f64 v[56:57], v[15:16], v[56:57]
	s_waitcnt vmcnt(7) lgkmcnt(0)
	v_mul_f64 v[105:106], v[101:102], v[71:72]
	v_mul_f64 v[71:72], v[28:29], v[71:72]
	v_fma_f64 v[32:33], v[13:14], v[50:51], -v[32:33]
	v_fma_f64 v[97:98], v[97:98], v[50:51], v[52:53]
	v_fma_f64 v[58:59], v[15:16], v[54:55], -v[58:59]
	ds_read2_b64 v[12:15], v39 offset0:115 offset1:142
	v_fma_f64 v[54:55], v[99:100], v[54:55], v[56:57]
	v_fma_f64 v[56:57], v[28:29], v[69:70], -v[105:106]
	s_waitcnt vmcnt(6)
	v_mul_f64 v[28:29], v[103:104], v[19:20]
	ds_read2_b64 v[50:53], v38 offset0:189 offset1:216
	s_waitcnt vmcnt(4) lgkmcnt(1)
	v_mul_f64 v[99:100], v[14:15], v[79:80]
	v_mul_f64 v[19:20], v[30:31], v[19:20]
	v_fma_f64 v[69:70], v[101:102], v[69:70], v[71:72]
	s_waitcnt lgkmcnt(0)
	v_mul_f64 v[71:72], v[50:51], v[75:76]
	v_mul_f64 v[75:76], v[42:43], v[75:76]
	v_fma_f64 v[105:106], v[30:31], v[17:18], -v[28:29]
	s_waitcnt vmcnt(3)
	v_mul_f64 v[101:102], v[52:53], v[83:84]
	v_fma_f64 v[28:29], v[26:27], v[77:78], -v[99:100]
	v_mul_f64 v[26:27], v[26:27], v[79:80]
	v_mul_f64 v[83:84], v[44:45], v[83:84]
	v_fma_f64 v[79:80], v[103:104], v[17:18], v[19:20]
	ds_read2_b64 v[16:19], v40 offset0:95 offset1:122
	v_fma_f64 v[42:43], v[42:43], v[73:74], -v[71:72]
	v_fma_f64 v[50:51], v[50:51], v[73:74], v[75:76]
	v_fma_f64 v[44:45], v[44:45], v[81:82], -v[101:102]
	v_add_f64 v[30:31], v[32:33], v[28:29]
	v_fma_f64 v[14:15], v[14:15], v[77:78], v[26:27]
	v_fma_f64 v[52:53], v[52:53], v[81:82], v[83:84]
	s_waitcnt vmcnt(2)
	v_mul_f64 v[26:27], v[12:13], v[87:88]
	v_mul_f64 v[71:72], v[24:25], v[87:88]
	s_waitcnt vmcnt(1) lgkmcnt(0)
	v_mul_f64 v[73:74], v[16:17], v[91:92]
	v_mul_f64 v[75:76], v[46:47], v[91:92]
	v_add_f64 v[83:84], v[107:108], v[32:33]
	v_fma_f64 v[30:31], v[30:31], -0.5, v[107:108]
	v_add_f64 v[87:88], v[97:98], -v[14:15]
	s_waitcnt vmcnt(0)
	v_mul_f64 v[81:82], v[48:49], v[95:96]
	v_mul_f64 v[77:78], v[18:19], v[95:96]
	v_fma_f64 v[71:72], v[12:13], v[85:86], v[71:72]
	v_fma_f64 v[46:47], v[46:47], v[89:90], -v[73:74]
	v_fma_f64 v[73:74], v[16:17], v[89:90], v[75:76]
	v_add_f64 v[12:13], v[83:84], v[28:29]
	v_fma_f64 v[91:92], v[24:25], v[85:86], -v[26:27]
	v_fma_f64 v[16:17], v[87:88], s[4:5], v[30:31]
	v_fma_f64 v[75:76], v[18:19], v[93:94], v[81:82]
	;; [unrolled: 1-line block ×3, first 2 shown]
	v_add_f64 v[26:27], v[58:59], v[56:57]
	v_fma_f64 v[48:49], v[48:49], v[93:94], -v[77:78]
	ds_read_b64 v[24:25], v34
	ds_read_b64 v[77:78], v35
	;; [unrolled: 1-line block ×5, first 2 shown]
	s_waitcnt lgkmcnt(0)
	s_barrier
	ds_write2_b64 v38, v[12:13], v[16:17] offset1:45
	ds_write_b64 v38, v[18:19] offset:720
	v_add_f64 v[12:13], v[42:43], v[105:106]
	v_fma_f64 v[16:17], v[26:27], -0.5, v[6:7]
	v_add_f64 v[6:7], v[6:7], v[58:59]
	v_add_f64 v[18:19], v[54:55], -v[69:70]
	v_add_f64 v[26:27], v[50:51], -v[79:80]
	v_add_f64 v[87:88], v[44:45], v[46:47]
	v_lshlrev_b32_e32 v20, 3, v109
	v_add3_u32 v20, v10, v20, v9
	v_fma_f64 v[12:13], v[12:13], -0.5, v[4:5]
	v_add_f64 v[4:5], v[4:5], v[42:43]
	v_add_f64 v[6:7], v[6:7], v[56:57]
	v_fma_f64 v[30:31], v[18:19], s[4:5], v[16:17]
	v_fma_f64 v[16:17], v[18:19], s[6:7], v[16:17]
	v_add_f64 v[93:94], v[32:33], -v[28:29]
	v_add_f64 v[95:96], v[54:55], v[69:70]
	v_add_f64 v[54:55], v[77:78], v[54:55]
	v_fma_f64 v[18:19], v[26:27], s[4:5], v[12:13]
	v_add_f64 v[4:5], v[4:5], v[105:106]
	v_fma_f64 v[12:13], v[26:27], s[6:7], v[12:13]
	ds_write2_b64 v20, v[6:7], v[30:31] offset1:45
	v_fma_f64 v[6:7], v[87:88], -0.5, v[2:3]
	v_add_f64 v[2:3], v[2:3], v[44:45]
	v_add_f64 v[26:27], v[52:53], -v[73:74]
	v_add_f64 v[30:31], v[91:92], v[48:49]
	ds_write_b64 v20, v[16:17] offset:720
	ds_write2_b64 v38, v[4:5], v[18:19] offset0:144 offset1:189
	ds_write_b64 v38, v[12:13] offset:1872
	v_add_f64 v[18:19], v[97:98], v[14:15]
	v_lshlrev_b32_sdwa v87, v11, v111 dst_sel:DWORD dst_unused:UNUSED_PAD src0_sel:DWORD src1_sel:BYTE_0
	v_add_f64 v[12:13], v[71:72], -v[75:76]
	v_add_f64 v[16:17], v[24:25], v[97:98]
	v_add_f64 v[2:3], v[2:3], v[46:47]
	v_fma_f64 v[4:5], v[26:27], s[4:5], v[6:7]
	v_fma_f64 v[10:11], v[30:31], -0.5, v[0:1]
	v_add_f64 v[0:1], v[0:1], v[91:92]
	v_fma_f64 v[89:90], v[18:19], -0.5, v[24:25]
	v_mad_u32_u24 v30, v110, s0, 0
	v_add3_u32 v99, v30, v87, v9
	v_fma_f64 v[6:7], v[26:27], s[6:7], v[6:7]
	v_add_f64 v[87:88], v[16:17], v[14:15]
	ds_write2_b64 v99, v[2:3], v[4:5] offset1:45
	v_fma_f64 v[2:3], v[12:13], s[4:5], v[10:11]
	v_add_f64 v[0:1], v[0:1], v[48:49]
	v_fma_f64 v[97:98], v[93:94], s[6:7], v[89:90]
	v_fma_f64 v[77:78], v[95:96], -0.5, v[77:78]
	v_add_f64 v[56:57], v[58:59], -v[56:57]
	v_fma_f64 v[4:5], v[12:13], s[6:7], v[10:11]
	v_add_f64 v[58:59], v[50:51], v[79:80]
	v_lshl_add_u32 v100, v112, 3, v8
	v_add_f64 v[54:55], v[54:55], v[69:70]
	v_add_f64 v[69:70], v[52:53], v[73:74]
	v_add_u32_e32 v101, 0x800, v100
	ds_write_b64 v99, v[6:7] offset:720
	ds_write2_b64 v101, v[0:1], v[2:3] offset0:14 offset1:59
	ds_write_b64 v100, v[4:5] offset:2880
	s_waitcnt lgkmcnt(0)
	s_barrier
	ds_read_b64 v[24:25], v34
	ds_read_b64 v[26:27], v35
	ds_read_b64 v[28:29], v36
	ds_read_b64 v[30:31], v37
	ds_read_b64 v[32:33], v41
	ds_read2_b64 v[0:3], v38 offset0:135 offset1:162
	ds_read2_b64 v[4:7], v39 offset0:115 offset1:142
	;; [unrolled: 1-line block ×5, first 2 shown]
	s_waitcnt lgkmcnt(0)
	s_barrier
	ds_write2_b64 v38, v[87:88], v[97:98] offset1:45
	v_fma_f64 v[87:88], v[56:57], s[6:7], v[77:78]
	v_fma_f64 v[56:57], v[56:57], s[4:5], v[77:78]
	v_add_f64 v[77:78], v[71:72], v[75:76]
	v_add_f64 v[50:51], v[81:82], v[50:51]
	v_fma_f64 v[58:59], v[58:59], -0.5, v[81:82]
	v_add_f64 v[42:43], v[42:43], -v[105:106]
	v_add_f64 v[52:53], v[83:84], v[52:53]
	v_fma_f64 v[69:70], v[69:70], -0.5, v[83:84]
	v_add_f64 v[44:45], v[44:45], -v[46:47]
	;; [unrolled: 3-line block ×3, first 2 shown]
	v_fma_f64 v[89:90], v[93:94], s[4:5], v[89:90]
	v_add_f64 v[50:51], v[50:51], v[79:80]
	v_fma_f64 v[77:78], v[42:43], s[6:7], v[58:59]
	v_fma_f64 v[42:43], v[42:43], s[4:5], v[58:59]
	v_add_f64 v[52:53], v[52:53], v[73:74]
	v_fma_f64 v[58:59], v[44:45], s[6:7], v[69:70]
	;; [unrolled: 3-line block ×3, first 2 shown]
	v_fma_f64 v[48:49], v[48:49], s[4:5], v[71:72]
	ds_write_b64 v38, v[89:90] offset:720
	ds_write2_b64 v20, v[54:55], v[87:88] offset1:45
	ds_write_b64 v20, v[56:57] offset:720
	ds_write2_b64 v38, v[50:51], v[77:78] offset0:144 offset1:189
	ds_write_b64 v38, v[42:43] offset:1872
	ds_write2_b64 v99, v[52:53], v[58:59] offset1:45
	ds_write_b64 v99, v[44:45] offset:720
	ds_write2_b64 v101, v[46:47], v[69:70] offset0:14 offset1:59
	ds_write_b64 v100, v[48:49] offset:2880
	s_waitcnt lgkmcnt(0)
	s_barrier
	s_and_saveexec_b64 s[0:1], vcc
	s_cbranch_execz .LBB0_15
; %bb.14:
	v_lshlrev_b32_e32 v20, 1, v67
	v_lshlrev_b64 v[42:43], 4, v[20:21]
	v_mov_b32_e32 v67, s9
	v_add_co_u32_e32 v50, vcc, s8, v42
	v_addc_co_u32_e32 v51, vcc, v67, v43, vcc
	v_lshlrev_b32_e32 v20, 1, v65
	global_load_dwordx4 v[42:45], v[50:51], off offset:2096
	global_load_dwordx4 v[46:49], v[50:51], off offset:2080
	v_lshlrev_b64 v[58:59], 4, v[20:21]
	global_load_dwordx4 v[50:53], v[22:23], off offset:2096
	global_load_dwordx4 v[54:57], v[22:23], off offset:2080
	v_add_co_u32_e32 v22, vcc, s8, v58
	v_addc_co_u32_e32 v23, vcc, v67, v59, vcc
	v_lshlrev_b32_e32 v20, 1, v68
	global_load_dwordx4 v[69:72], v[22:23], off offset:2096
	global_load_dwordx4 v[73:76], v[22:23], off offset:2080
	v_lshlrev_b64 v[22:23], 4, v[20:21]
	v_lshlrev_b32_e32 v20, 1, v66
	v_add_co_u32_e32 v22, vcc, s8, v22
	v_addc_co_u32_e32 v23, vcc, v67, v23, vcc
	v_lshlrev_b64 v[20:21], 4, v[20:21]
	global_load_dwordx4 v[77:80], v[22:23], off offset:2080
	global_load_dwordx4 v[81:84], v[22:23], off offset:2096
	v_add_co_u32_e32 v58, vcc, s8, v20
	v_addc_co_u32_e32 v59, vcc, v67, v21, vcc
	global_load_dwordx4 v[20:23], v[58:59], off offset:2080
	global_load_dwordx4 v[65:68], v[58:59], off offset:2096
	ds_read2_b64 v[85:88], v39 offset0:115 offset1:142
	ds_read2_b64 v[89:92], v40 offset0:95 offset1:122
	ds_read_b64 v[58:59], v41
	ds_read2_b64 v[93:96], v38 offset0:189 offset1:216
	ds_read2_b64 v[97:100], v40 offset0:41 offset1:68
	;; [unrolled: 1-line block ×3, first 2 shown]
	v_add_co_u32_e32 v60, vcc, s12, v60
	s_waitcnt vmcnt(9) lgkmcnt(4)
	v_mul_f64 v[107:108], v[91:92], v[44:45]
	s_waitcnt vmcnt(8)
	v_mul_f64 v[105:106], v[85:86], v[48:49]
	v_mul_f64 v[48:49], v[4:5], v[48:49]
	;; [unrolled: 1-line block ×3, first 2 shown]
	s_waitcnt vmcnt(6)
	v_mul_f64 v[101:102], v[0:1], v[56:57]
	v_mul_f64 v[103:104], v[6:7], v[52:53]
	;; [unrolled: 1-line block ×3, first 2 shown]
	s_waitcnt vmcnt(5)
	v_mul_f64 v[111:112], v[89:90], v[71:72]
	s_waitcnt vmcnt(4) lgkmcnt(2)
	v_mul_f64 v[109:110], v[95:96], v[75:76]
	v_mul_f64 v[75:76], v[14:15], v[75:76]
	;; [unrolled: 1-line block ×3, first 2 shown]
	v_fma_f64 v[4:5], v[4:5], v[46:47], -v[105:106]
	v_fma_f64 v[46:47], v[46:47], v[85:86], v[48:49]
	v_fma_f64 v[18:19], v[18:19], v[42:43], -v[107:108]
	v_fma_f64 v[42:43], v[42:43], v[91:92], v[44:45]
	s_waitcnt vmcnt(3)
	v_mul_f64 v[113:114], v[93:94], v[79:80]
	s_waitcnt vmcnt(2) lgkmcnt(1)
	v_mul_f64 v[48:49], v[99:100], v[83:84]
	v_mul_f64 v[79:80], v[12:13], v[79:80]
	;; [unrolled: 1-line block ×3, first 2 shown]
	v_fma_f64 v[16:17], v[16:17], v[69:70], -v[111:112]
	s_waitcnt vmcnt(1) lgkmcnt(0)
	v_mul_f64 v[83:84], v[40:41], v[22:23]
	s_waitcnt vmcnt(0)
	v_mul_f64 v[85:86], v[97:98], v[67:68]
	v_mul_f64 v[22:23], v[2:3], v[22:23]
	v_fma_f64 v[14:15], v[14:15], v[73:74], -v[109:110]
	v_fma_f64 v[73:74], v[73:74], v[95:96], v[75:76]
	v_fma_f64 v[69:70], v[69:70], v[89:90], v[71:72]
	v_fma_f64 v[48:49], v[10:11], v[81:82], -v[48:49]
	v_fma_f64 v[10:11], v[77:78], v[93:94], v[79:80]
	v_fma_f64 v[44:45], v[81:82], v[99:100], v[44:45]
	v_mul_f64 v[67:68], v[8:9], v[67:68]
	v_fma_f64 v[12:13], v[12:13], v[77:78], -v[113:114]
	v_fma_f64 v[71:72], v[2:3], v[20:21], -v[83:84]
	;; [unrolled: 1-line block ×3, first 2 shown]
	v_fma_f64 v[77:78], v[20:21], v[40:41], v[22:23]
	v_add_f64 v[2:3], v[46:47], v[42:43]
	v_add_f64 v[8:9], v[46:47], v[58:59]
	v_add_f64 v[40:41], v[46:47], -v[42:43]
	ds_read_b64 v[46:47], v37
	v_add_f64 v[22:23], v[4:5], v[18:19]
	v_add_f64 v[81:82], v[73:74], v[69:70]
	;; [unrolled: 1-line block ×4, first 2 shown]
	s_waitcnt lgkmcnt(0)
	v_add_f64 v[83:84], v[73:74], v[46:47]
	ds_read_b64 v[36:37], v36
	ds_read_b64 v[93:94], v35
	v_fma_f64 v[79:80], v[65:66], v[97:98], v[67:68]
	v_add_f64 v[20:21], v[4:5], -v[18:19]
	v_add_f64 v[65:66], v[32:33], v[4:5]
	v_add_f64 v[67:68], v[14:15], -v[16:17]
	v_add_f64 v[73:74], v[73:74], -v[69:70]
	v_add_f64 v[14:15], v[30:31], v[14:15]
	v_add_f64 v[89:90], v[12:13], -v[48:49]
	s_waitcnt lgkmcnt(1)
	v_add_f64 v[95:96], v[10:11], v[36:37]
	v_add_f64 v[99:100], v[10:11], -v[44:45]
	v_fma_f64 v[58:59], v[2:3], -0.5, v[58:59]
	v_add_f64 v[4:5], v[42:43], v[8:9]
	v_fma_f64 v[32:33], v[22:23], -0.5, v[32:33]
	v_fma_f64 v[42:43], v[81:82], -0.5, v[46:47]
	v_add_f64 v[10:11], v[69:70], v[83:84]
	ds_read_b64 v[69:70], v34
	v_fma_f64 v[46:47], v[85:86], -0.5, v[30:31]
	v_fma_f64 v[35:36], v[91:92], -0.5, v[36:37]
	v_add_f64 v[97:98], v[12:13], v[48:49]
	v_add_f64 v[2:3], v[65:66], v[18:19]
	;; [unrolled: 1-line block ×3, first 2 shown]
	v_fma_f64 v[18:19], v[20:21], s[4:5], v[58:59]
	v_fma_f64 v[22:23], v[20:21], s[6:7], v[58:59]
	;; [unrolled: 1-line block ×10, first 2 shown]
	v_mul_f64 v[35:36], v[38:39], v[56:57]
	v_add_f64 v[105:106], v[77:78], v[79:80]
	v_fma_f64 v[65:66], v[97:98], -0.5, v[28:29]
	v_fma_f64 v[38:39], v[54:55], v[38:39], v[101:102]
	v_fma_f64 v[56:57], v[50:51], v[87:88], v[103:104]
	v_add_f64 v[12:13], v[28:29], v[12:13]
	v_add_f64 v[28:29], v[71:72], v[75:76]
	v_fma_f64 v[6:7], v[6:7], v[50:51], -v[52:53]
	v_fma_f64 v[0:1], v[0:1], v[54:55], -v[35:36]
	v_add_f64 v[58:59], v[71:72], -v[75:76]
	s_waitcnt lgkmcnt(1)
	v_fma_f64 v[73:74], v[105:106], -0.5, v[93:94]
	v_add_f64 v[54:55], v[77:78], -v[79:80]
	v_add_f64 v[34:35], v[38:39], v[56:57]
	v_add_f64 v[12:13], v[12:13], v[48:49]
	v_fma_f64 v[52:53], v[28:29], -0.5, v[26:27]
	v_add_f64 v[48:49], v[77:78], v[93:94]
	v_add_f64 v[83:84], v[0:1], v[6:7]
	;; [unrolled: 1-line block ×3, first 2 shown]
	v_fma_f64 v[28:29], v[58:59], s[4:5], v[73:74]
	v_fma_f64 v[36:37], v[58:59], s[6:7], v[73:74]
	v_mad_u64_u32 v[73:74], s[0:1], s2, v62, 0
	v_add_f64 v[77:78], v[0:1], -v[6:7]
	s_waitcnt lgkmcnt(0)
	v_fma_f64 v[81:82], v[34:35], -0.5, v[69:70]
	v_fma_f64 v[26:27], v[54:55], s[6:7], v[52:53]
	v_fma_f64 v[34:35], v[54:55], s[4:5], v[52:53]
	v_add_f64 v[52:53], v[38:39], v[69:70]
	v_fma_f64 v[69:70], v[83:84], -0.5, v[24:25]
	v_add_f64 v[38:39], v[38:39], -v[56:57]
	v_add_f64 v[0:1], v[24:25], v[0:1]
	v_mov_b32_e32 v24, v74
	v_mad_u64_u32 v[24:25], s[0:1], s3, v62, v[24:25]
	v_add_f64 v[50:51], v[79:80], v[48:49]
	v_add_f64 v[48:49], v[71:72], v[75:76]
	v_mov_b32_e32 v74, v24
	v_add_u32_e32 v24, 0x87, v62
	v_add_f64 v[71:72], v[52:53], v[56:57]
	v_fma_f64 v[52:53], v[38:39], s[6:7], v[69:70]
	v_fma_f64 v[56:57], v[38:39], s[4:5], v[69:70]
	v_add_f64 v[69:70], v[0:1], v[6:7]
	v_mad_u64_u32 v[6:7], s[0:1], s2, v24, 0
	v_mov_b32_e32 v0, s13
	v_addc_co_u32_e32 v61, vcc, v0, v61, vcc
	v_mad_u64_u32 v[24:25], s[0:1], s3, v24, v[7:8]
	v_add_u32_e32 v25, 0x10e, v62
	v_lshlrev_b64 v[0:1], 4, v[73:74]
	v_mad_u64_u32 v[38:39], s[0:1], s2, v25, 0
	v_add_co_u32_e32 v0, vcc, v60, v0
	v_addc_co_u32_e32 v1, vcc, v61, v1, vcc
	v_mov_b32_e32 v7, v24
	global_store_dwordx4 v[0:1], v[69:72], off
	v_lshlrev_b64 v[0:1], 4, v[6:7]
	v_mov_b32_e32 v6, v39
	v_mad_u64_u32 v[6:7], s[0:1], s3, v25, v[6:7]
	v_fma_f64 v[58:59], v[77:78], s[6:7], v[81:82]
	v_fma_f64 v[54:55], v[77:78], s[4:5], v[81:82]
	v_mov_b32_e32 v39, v6
	v_mad_u64_u32 v[6:7], s[0:1], s2, v64, 0
	v_add_co_u32_e32 v0, vcc, v60, v0
	v_mad_u64_u32 v[24:25], s[0:1], s3, v64, v[7:8]
	v_addc_co_u32_e32 v1, vcc, v61, v1, vcc
	v_add_u32_e32 v25, 0xa2, v62
	global_store_dwordx4 v[0:1], v[56:59], off
	v_lshlrev_b64 v[0:1], 4, v[38:39]
	v_mad_u64_u32 v[38:39], s[0:1], s2, v25, 0
	v_add_co_u32_e32 v0, vcc, v60, v0
	v_addc_co_u32_e32 v1, vcc, v61, v1, vcc
	v_mov_b32_e32 v7, v24
	global_store_dwordx4 v[0:1], v[52:55], off
	v_lshlrev_b64 v[0:1], 4, v[6:7]
	v_mov_b32_e32 v6, v39
	v_mad_u64_u32 v[6:7], s[0:1], s3, v25, v[6:7]
	v_add_u32_e32 v24, 0x129, v62
	v_add_co_u32_e32 v0, vcc, v60, v0
	v_mov_b32_e32 v39, v6
	v_mad_u64_u32 v[6:7], s[0:1], s2, v24, 0
	v_addc_co_u32_e32 v1, vcc, v61, v1, vcc
	v_mad_u64_u32 v[24:25], s[0:1], s3, v24, v[7:8]
	global_store_dwordx4 v[0:1], v[48:51], off
	v_lshlrev_b64 v[0:1], 4, v[38:39]
	v_mad_u64_u32 v[38:39], s[0:1], s2, v63, 0
	v_add_co_u32_e32 v0, vcc, v60, v0
	v_addc_co_u32_e32 v1, vcc, v61, v1, vcc
	v_mov_b32_e32 v7, v24
	global_store_dwordx4 v[0:1], v[34:37], off
	v_lshlrev_b64 v[0:1], 4, v[6:7]
	v_mov_b32_e32 v6, v39
	v_mad_u64_u32 v[6:7], s[0:1], s3, v63, v[6:7]
	v_add_u32_e32 v24, 0xbd, v62
	v_add_f64 v[14:15], v[44:45], v[95:96]
	v_mov_b32_e32 v39, v6
	v_mad_u64_u32 v[6:7], s[0:1], s2, v24, 0
	v_add_co_u32_e32 v0, vcc, v60, v0
	v_addc_co_u32_e32 v1, vcc, v61, v1, vcc
	global_store_dwordx4 v[0:1], v[26:29], off
	v_mad_u64_u32 v[24:25], s[0:1], s3, v24, v[7:8]
	v_add_u32_e32 v27, 0x144, v62
	v_lshlrev_b64 v[0:1], 4, v[38:39]
	v_mad_u64_u32 v[25:26], s[0:1], s2, v27, 0
	v_add_co_u32_e32 v0, vcc, v60, v0
	v_addc_co_u32_e32 v1, vcc, v61, v1, vcc
	v_mov_b32_e32 v7, v24
	global_store_dwordx4 v[0:1], v[12:15], off
	v_lshlrev_b64 v[0:1], 4, v[6:7]
	v_mov_b32_e32 v6, v26
	v_mad_u64_u32 v[6:7], s[0:1], s3, v27, v[6:7]
	v_fma_f64 v[44:45], v[99:100], s[6:7], v[65:66]
	v_fma_f64 v[65:66], v[99:100], s[4:5], v[65:66]
	v_add_u32_e32 v12, 0x51, v62
	v_mov_b32_e32 v26, v6
	v_mad_u64_u32 v[6:7], s[0:1], s2, v12, 0
	v_add_co_u32_e32 v0, vcc, v60, v0
	v_addc_co_u32_e32 v1, vcc, v61, v1, vcc
	v_mad_u64_u32 v[12:13], s[0:1], s3, v12, v[7:8]
	v_add_u32_e32 v15, 0xd8, v62
	global_store_dwordx4 v[0:1], v[65:68], off
	v_lshlrev_b64 v[0:1], 4, v[25:26]
	v_mad_u64_u32 v[13:14], s[0:1], s2, v15, 0
	v_add_co_u32_e32 v0, vcc, v60, v0
	v_addc_co_u32_e32 v1, vcc, v61, v1, vcc
	v_mov_b32_e32 v7, v12
	global_store_dwordx4 v[0:1], v[44:47], off
	v_lshlrev_b64 v[0:1], 4, v[6:7]
	v_mov_b32_e32 v6, v14
	v_mad_u64_u32 v[6:7], s[0:1], s3, v15, v[6:7]
	v_add_co_u32_e32 v0, vcc, v60, v0
	v_addc_co_u32_e32 v1, vcc, v61, v1, vcc
	global_store_dwordx4 v[0:1], v[8:11], off
	v_mov_b32_e32 v14, v6
	v_add_u32_e32 v8, 0x15f, v62
	v_mad_u64_u32 v[6:7], s[0:1], s2, v8, 0
	v_add_u32_e32 v9, 0x6c, v62
	s_mov_b32 s0, 0xf2b9d649
	v_mul_hi_u32 v10, v9, s0
	v_mad_u64_u32 v[7:8], s[0:1], s3, v8, v[7:8]
	s_movk_i32 s4, 0x10e
	v_lshrrev_b32_e32 v8, 7, v10
	v_mad_u32_u24 v10, v8, s4, v9
	v_lshlrev_b64 v[0:1], 4, v[13:14]
	v_mad_u64_u32 v[8:9], s[0:1], s2, v10, 0
	v_add_co_u32_e32 v0, vcc, v60, v0
	v_addc_co_u32_e32 v1, vcc, v61, v1, vcc
	global_store_dwordx4 v[0:1], v[40:43], off
	v_lshlrev_b64 v[0:1], 4, v[6:7]
	v_mov_b32_e32 v6, v9
	v_mad_u64_u32 v[6:7], s[0:1], s3, v10, v[6:7]
	v_add_co_u32_e32 v0, vcc, v60, v0
	v_addc_co_u32_e32 v1, vcc, v61, v1, vcc
	v_mov_b32_e32 v9, v6
	global_store_dwordx4 v[0:1], v[30:33], off
	v_lshlrev_b64 v[0:1], 4, v[8:9]
	v_add_u32_e32 v8, 0x87, v10
	v_mad_u64_u32 v[6:7], s[0:1], s2, v8, 0
	v_add_u32_e32 v10, 0x10e, v10
	v_add_co_u32_e32 v0, vcc, v60, v0
	v_mad_u64_u32 v[7:8], s[0:1], s3, v8, v[7:8]
	v_mad_u64_u32 v[8:9], s[0:1], s2, v10, 0
	v_addc_co_u32_e32 v1, vcc, v61, v1, vcc
	global_store_dwordx4 v[0:1], v[2:5], off
	v_lshlrev_b64 v[0:1], 4, v[6:7]
	v_mov_b32_e32 v2, v9
	v_mad_u64_u32 v[2:3], s[0:1], s3, v10, v[2:3]
	v_add_co_u32_e32 v0, vcc, v60, v0
	v_addc_co_u32_e32 v1, vcc, v61, v1, vcc
	v_mov_b32_e32 v9, v2
	global_store_dwordx4 v[0:1], v[20:23], off
	v_lshlrev_b64 v[0:1], 4, v[8:9]
	v_add_co_u32_e32 v0, vcc, v60, v0
	v_addc_co_u32_e32 v1, vcc, v61, v1, vcc
	global_store_dwordx4 v[0:1], v[16:19], off
.LBB0_15:
	s_endpgm
	.section	.rodata,"a",@progbits
	.p2align	6, 0x0
	.amdhsa_kernel fft_rtc_fwd_len405_factors_5_3_3_3_3_wgs_108_tpt_27_halfLds_dp_ip_CI_sbrr_dirReg
		.amdhsa_group_segment_fixed_size 0
		.amdhsa_private_segment_fixed_size 0
		.amdhsa_kernarg_size 88
		.amdhsa_user_sgpr_count 6
		.amdhsa_user_sgpr_private_segment_buffer 1
		.amdhsa_user_sgpr_dispatch_ptr 0
		.amdhsa_user_sgpr_queue_ptr 0
		.amdhsa_user_sgpr_kernarg_segment_ptr 1
		.amdhsa_user_sgpr_dispatch_id 0
		.amdhsa_user_sgpr_flat_scratch_init 0
		.amdhsa_user_sgpr_private_segment_size 0
		.amdhsa_uses_dynamic_stack 0
		.amdhsa_system_sgpr_private_segment_wavefront_offset 0
		.amdhsa_system_sgpr_workgroup_id_x 1
		.amdhsa_system_sgpr_workgroup_id_y 0
		.amdhsa_system_sgpr_workgroup_id_z 0
		.amdhsa_system_sgpr_workgroup_info 0
		.amdhsa_system_vgpr_workitem_id 0
		.amdhsa_next_free_vgpr 130
		.amdhsa_next_free_sgpr 24
		.amdhsa_reserve_vcc 1
		.amdhsa_reserve_flat_scratch 0
		.amdhsa_float_round_mode_32 0
		.amdhsa_float_round_mode_16_64 0
		.amdhsa_float_denorm_mode_32 3
		.amdhsa_float_denorm_mode_16_64 3
		.amdhsa_dx10_clamp 1
		.amdhsa_ieee_mode 1
		.amdhsa_fp16_overflow 0
		.amdhsa_exception_fp_ieee_invalid_op 0
		.amdhsa_exception_fp_denorm_src 0
		.amdhsa_exception_fp_ieee_div_zero 0
		.amdhsa_exception_fp_ieee_overflow 0
		.amdhsa_exception_fp_ieee_underflow 0
		.amdhsa_exception_fp_ieee_inexact 0
		.amdhsa_exception_int_div_zero 0
	.end_amdhsa_kernel
	.text
.Lfunc_end0:
	.size	fft_rtc_fwd_len405_factors_5_3_3_3_3_wgs_108_tpt_27_halfLds_dp_ip_CI_sbrr_dirReg, .Lfunc_end0-fft_rtc_fwd_len405_factors_5_3_3_3_3_wgs_108_tpt_27_halfLds_dp_ip_CI_sbrr_dirReg
                                        ; -- End function
	.section	.AMDGPU.csdata,"",@progbits
; Kernel info:
; codeLenInByte = 10916
; NumSgprs: 28
; NumVgprs: 130
; ScratchSize: 0
; MemoryBound: 1
; FloatMode: 240
; IeeeMode: 1
; LDSByteSize: 0 bytes/workgroup (compile time only)
; SGPRBlocks: 3
; VGPRBlocks: 32
; NumSGPRsForWavesPerEU: 28
; NumVGPRsForWavesPerEU: 130
; Occupancy: 1
; WaveLimiterHint : 1
; COMPUTE_PGM_RSRC2:SCRATCH_EN: 0
; COMPUTE_PGM_RSRC2:USER_SGPR: 6
; COMPUTE_PGM_RSRC2:TRAP_HANDLER: 0
; COMPUTE_PGM_RSRC2:TGID_X_EN: 1
; COMPUTE_PGM_RSRC2:TGID_Y_EN: 0
; COMPUTE_PGM_RSRC2:TGID_Z_EN: 0
; COMPUTE_PGM_RSRC2:TIDIG_COMP_CNT: 0
	.type	__hip_cuid_bc328b1d61f5e55,@object ; @__hip_cuid_bc328b1d61f5e55
	.section	.bss,"aw",@nobits
	.globl	__hip_cuid_bc328b1d61f5e55
__hip_cuid_bc328b1d61f5e55:
	.byte	0                               ; 0x0
	.size	__hip_cuid_bc328b1d61f5e55, 1

	.ident	"AMD clang version 19.0.0git (https://github.com/RadeonOpenCompute/llvm-project roc-6.4.0 25133 c7fe45cf4b819c5991fe208aaa96edf142730f1d)"
	.section	".note.GNU-stack","",@progbits
	.addrsig
	.addrsig_sym __hip_cuid_bc328b1d61f5e55
	.amdgpu_metadata
---
amdhsa.kernels:
  - .args:
      - .actual_access:  read_only
        .address_space:  global
        .offset:         0
        .size:           8
        .value_kind:     global_buffer
      - .offset:         8
        .size:           8
        .value_kind:     by_value
      - .actual_access:  read_only
        .address_space:  global
        .offset:         16
        .size:           8
        .value_kind:     global_buffer
      - .actual_access:  read_only
        .address_space:  global
        .offset:         24
        .size:           8
        .value_kind:     global_buffer
      - .offset:         32
        .size:           8
        .value_kind:     by_value
      - .actual_access:  read_only
        .address_space:  global
        .offset:         40
        .size:           8
        .value_kind:     global_buffer
      - .actual_access:  read_only
        .address_space:  global
        .offset:         48
        .size:           8
        .value_kind:     global_buffer
      - .offset:         56
        .size:           4
        .value_kind:     by_value
      - .actual_access:  read_only
        .address_space:  global
        .offset:         64
        .size:           8
        .value_kind:     global_buffer
      - .actual_access:  read_only
        .address_space:  global
        .offset:         72
        .size:           8
        .value_kind:     global_buffer
      - .address_space:  global
        .offset:         80
        .size:           8
        .value_kind:     global_buffer
    .group_segment_fixed_size: 0
    .kernarg_segment_align: 8
    .kernarg_segment_size: 88
    .language:       OpenCL C
    .language_version:
      - 2
      - 0
    .max_flat_workgroup_size: 108
    .name:           fft_rtc_fwd_len405_factors_5_3_3_3_3_wgs_108_tpt_27_halfLds_dp_ip_CI_sbrr_dirReg
    .private_segment_fixed_size: 0
    .sgpr_count:     28
    .sgpr_spill_count: 0
    .symbol:         fft_rtc_fwd_len405_factors_5_3_3_3_3_wgs_108_tpt_27_halfLds_dp_ip_CI_sbrr_dirReg.kd
    .uniform_work_group_size: 1
    .uses_dynamic_stack: false
    .vgpr_count:     130
    .vgpr_spill_count: 0
    .wavefront_size: 64
amdhsa.target:   amdgcn-amd-amdhsa--gfx906
amdhsa.version:
  - 1
  - 2
...

	.end_amdgpu_metadata
